;; amdgpu-corpus repo=ROCm/rocFFT kind=compiled arch=gfx906 opt=O3
	.text
	.amdgcn_target "amdgcn-amd-amdhsa--gfx906"
	.amdhsa_code_object_version 6
	.protected	bluestein_single_fwd_len1815_dim1_dp_op_CI_CI ; -- Begin function bluestein_single_fwd_len1815_dim1_dp_op_CI_CI
	.globl	bluestein_single_fwd_len1815_dim1_dp_op_CI_CI
	.p2align	8
	.type	bluestein_single_fwd_len1815_dim1_dp_op_CI_CI,@function
bluestein_single_fwd_len1815_dim1_dp_op_CI_CI: ; @bluestein_single_fwd_len1815_dim1_dp_op_CI_CI
; %bb.0:
	s_load_dwordx4 s[16:19], s[4:5], 0x28
	s_mov_b64 s[42:43], s[2:3]
	v_mul_u32_u24_e32 v1, 0x18e, v0
	s_mov_b64 s[40:41], s[0:1]
	v_add_u32_sdwa v224, s6, v1 dst_sel:DWORD dst_unused:UNUSED_PAD src0_sel:DWORD src1_sel:WORD_1
	v_mov_b32_e32 v225, 0
	s_add_u32 s40, s40, s7
	s_waitcnt lgkmcnt(0)
	v_cmp_gt_u64_e32 vcc, s[16:17], v[224:225]
	s_addc_u32 s41, s41, 0
	s_and_saveexec_b64 s[0:1], vcc
	s_cbranch_execz .LBB0_18
; %bb.1:
	s_load_dwordx4 s[8:11], s[4:5], 0x18
	s_load_dwordx4 s[12:15], s[4:5], 0x0
	s_movk_i32 s6, 0xa5
	v_mul_lo_u16_sdwa v1, v1, s6 dst_sel:DWORD dst_unused:UNUSED_PAD src0_sel:WORD_1 src1_sel:DWORD
	v_sub_u16_e32 v248, v0, v1
	s_waitcnt lgkmcnt(0)
	s_load_dwordx4 s[0:3], s[8:9], 0x0
	v_lshlrev_b32_e32 v247, 4, v248
	s_mov_b32 s17, 0xbfed1bb4
	s_mov_b32 s16, 0x8eee2c13
	;; [unrolled: 1-line block ×3, first 2 shown]
	s_waitcnt lgkmcnt(0)
	v_mad_u64_u32 v[0:1], s[6:7], s2, v224, 0
	v_mad_u64_u32 v[2:3], s[6:7], s0, v248, 0
	s_mul_hi_u32 s6, s0, 0xa50
	s_mulk_i32 s0, 0xa50
	v_mad_u64_u32 v[4:5], s[2:3], s3, v224, v[1:2]
	s_mov_b32 s24, 0xbb3a28a1
	s_mov_b32 s30, 0xfd768dbf
	v_mad_u64_u32 v[5:6], s[2:3], s1, v248, v[3:4]
	v_mov_b32_e32 v1, v4
	v_lshlrev_b64 v[0:1], 4, v[0:1]
	v_mov_b32_e32 v6, s19
	v_mov_b32_e32 v3, v5
	v_add_co_u32_e32 v4, vcc, s18, v0
	v_addc_co_u32_e32 v5, vcc, v6, v1, vcc
	v_lshlrev_b64 v[0:1], 4, v[2:3]
	v_mov_b32_e32 v2, s13
	v_add_co_u32_e32 v0, vcc, v4, v0
	v_add_co_u32_e64 v255, s[2:3], s12, v247
	s_mulk_i32 s1, 0xa50
	v_addc_co_u32_e32 v1, vcc, v5, v1, vcc
	v_addc_co_u32_e64 v4, vcc, 0, v2, s[2:3]
	s_add_i32 s1, s6, s1
	v_mov_b32_e32 v3, s1
	v_add_co_u32_e32 v2, vcc, s0, v0
	v_addc_co_u32_e32 v3, vcc, v1, v3, vcc
	global_load_dwordx4 v[44:47], v[0:1], off
	global_load_dwordx4 v[48:51], v[2:3], off
	global_load_dwordx4 v[32:35], v247, s[12:13]
	global_load_dwordx4 v[20:23], v247, s[12:13] offset:2640
	v_mov_b32_e32 v1, s1
	v_add_co_u32_e32 v0, vcc, s0, v2
	v_addc_co_u32_e32 v1, vcc, v3, v1, vcc
	s_movk_i32 s6, 0x1000
	v_add_co_u32_e32 v2, vcc, s6, v255
	global_load_dwordx4 v[52:55], v[0:1], off
	v_addc_co_u32_e32 v3, vcc, 0, v4, vcc
	global_load_dwordx4 v[24:27], v[2:3], off offset:1184
	global_load_dwordx4 v[9:12], v[2:3], off offset:3824
	v_mov_b32_e32 v5, s1
	v_add_co_u32_e32 v0, vcc, s0, v0
	v_addc_co_u32_e32 v1, vcc, v1, v5, vcc
	v_mov_b32_e32 v3, s1
	v_add_co_u32_e32 v2, vcc, s0, v0
	v_addc_co_u32_e32 v3, vcc, v1, v3, vcc
	s_movk_i32 s6, 0x2000
	global_load_dwordx4 v[56:59], v[0:1], off
	global_load_dwordx4 v[60:63], v[2:3], off
	v_add_co_u32_e32 v0, vcc, s6, v255
	v_addc_co_u32_e32 v1, vcc, 0, v4, vcc
	global_load_dwordx4 v[100:103], v[0:1], off offset:2368
	v_mov_b32_e32 v1, s1
	v_add_co_u32_e32 v0, vcc, s0, v2
	v_addc_co_u32_e32 v1, vcc, v3, v1, vcc
	s_movk_i32 s6, 0x3000
	v_add_co_u32_e32 v2, vcc, s6, v255
	v_addc_co_u32_e32 v3, vcc, 0, v4, vcc
	global_load_dwordx4 v[64:67], v[0:1], off
	v_add_co_u32_e32 v0, vcc, s0, v0
	v_addc_co_u32_e32 v1, vcc, v1, v5, vcc
	global_load_dwordx4 v[68:71], v[0:1], off
	global_load_dwordx4 v[36:39], v[2:3], off offset:912
	global_load_dwordx4 v[104:107], v[2:3], off offset:3552
	v_mov_b32_e32 v2, s1
	v_add_co_u32_e32 v0, vcc, s0, v0
	v_addc_co_u32_e32 v1, vcc, v1, v2, vcc
	s_movk_i32 s6, 0x4000
	v_add_co_u32_e32 v2, vcc, s6, v255
	v_addc_co_u32_e32 v3, vcc, 0, v4, vcc
	global_load_dwordx4 v[72:75], v[0:1], off
	global_load_dwordx4 v[16:19], v[2:3], off offset:2096
	v_mov_b32_e32 v2, s1
	v_add_co_u32_e32 v0, vcc, s0, v0
	v_addc_co_u32_e32 v1, vcc, v1, v2, vcc
	s_movk_i32 s6, 0x5000
	v_add_co_u32_e32 v28, vcc, s6, v255
	v_addc_co_u32_e32 v29, vcc, 0, v4, vcc
	v_add_co_u32_e32 v30, vcc, s0, v0
	v_addc_co_u32_e32 v31, vcc, v1, v2, vcc
	global_load_dwordx4 v[76:79], v[0:1], off
	global_load_dwordx4 v[80:83], v[30:31], off
	global_load_dwordx4 v[40:43], v[28:29], off offset:640
	global_load_dwordx4 v[5:8], v[28:29], off offset:3280
	v_mov_b32_e32 v0, s1
	v_add_co_u32_e32 v28, vcc, s0, v30
	v_addc_co_u32_e32 v29, vcc, v31, v0, vcc
	s_waitcnt vmcnt(17)
	v_mul_f64 v[88:89], v[46:47], v[34:35]
	v_mul_f64 v[90:91], v[44:45], v[34:35]
	s_waitcnt vmcnt(16)
	v_mul_f64 v[92:93], v[50:51], v[22:23]
	v_mul_f64 v[94:95], v[48:49], v[22:23]
	s_movk_i32 s0, 0x6000
	global_load_dwordx4 v[84:87], v[28:29], off
	v_add_co_u32_e32 v28, vcc, s0, v255
	v_fma_f64 v[44:45], v[44:45], v[32:33], v[88:89]
	v_fma_f64 v[46:47], v[46:47], v[32:33], -v[90:91]
	v_fma_f64 v[48:49], v[48:49], v[20:21], v[92:93]
	v_fma_f64 v[50:51], v[50:51], v[20:21], -v[94:95]
	s_waitcnt vmcnt(15)
	v_mul_f64 v[96:97], v[54:55], v[26:27]
	v_mul_f64 v[98:99], v[52:53], v[26:27]
	v_addc_co_u32_e32 v29, vcc, 0, v4, vcc
	global_load_dwordx4 v[28:31], v[28:29], off offset:1824
	s_load_dwordx4 s[8:11], s[10:11], 0x0
	s_mov_b32 s6, 0xf8bb580b
	s_mov_b32 s18, 0xd9c712b6
	v_fma_f64 v[52:53], v[52:53], v[24:25], v[96:97]
	v_fma_f64 v[54:55], v[54:55], v[24:25], -v[98:99]
	ds_write_b128 v247, v[44:47]
	ds_write_b128 v247, v[48:51] offset:2640
	ds_write_b128 v247, v[52:55] offset:5280
	s_waitcnt vmcnt(14)
	v_mul_f64 v[44:45], v[58:59], v[11:12]
	v_mul_f64 v[46:47], v[56:57], v[11:12]
	s_waitcnt vmcnt(12)
	v_mul_f64 v[48:49], v[62:63], v[102:103]
	v_mul_f64 v[50:51], v[60:61], v[102:103]
	s_mov_b32 s7, 0xbfe14ced
	s_mov_b32 s21, 0xbfefac9e
	s_mov_b32 s19, 0x3fda9628
	s_mov_b32 s25, 0xbfe82f19
	v_fma_f64 v[44:45], v[56:57], v[9:10], v[44:45]
	buffer_store_dword v9, off, s[40:43], 0 offset:16 ; 4-byte Folded Spill
	s_nop 0
	buffer_store_dword v10, off, s[40:43], 0 offset:20 ; 4-byte Folded Spill
	buffer_store_dword v11, off, s[40:43], 0 offset:24 ; 4-byte Folded Spill
	;; [unrolled: 1-line block ×3, first 2 shown]
	v_fma_f64 v[48:49], v[60:61], v[100:101], v[48:49]
	buffer_store_dword v100, off, s[40:43], 0 offset:32 ; 4-byte Folded Spill
	s_nop 0
	buffer_store_dword v101, off, s[40:43], 0 offset:36 ; 4-byte Folded Spill
	buffer_store_dword v102, off, s[40:43], 0 offset:40 ; 4-byte Folded Spill
	;; [unrolled: 1-line block ×3, first 2 shown]
	s_mov_b32 s31, 0xbfd207e7
	s_mov_b32 s22, 0x8764f0ba
	;; [unrolled: 1-line block ×5, first 2 shown]
	s_waitcnt vmcnt(17)
	v_mul_f64 v[52:53], v[66:67], v[38:39]
	s_waitcnt vmcnt(16)
	v_mul_f64 v[88:89], v[70:71], v[106:107]
	v_mul_f64 v[90:91], v[68:69], v[106:107]
	;; [unrolled: 1-line block ×3, first 2 shown]
	s_mov_b32 s23, 0x3feaeb8c
	s_mov_b32 s1, 0xbfc2375f
	s_mov_b32 s27, 0xbfe4f49e
	s_mov_b32 s29, 0xbfeeb42a
	v_fma_f64 v[52:53], v[64:65], v[36:37], v[52:53]
	v_fma_f64 v[56:57], v[68:69], v[104:105], v[88:89]
	buffer_store_dword v104, off, s[40:43], 0 offset:48 ; 4-byte Folded Spill
	s_nop 0
	buffer_store_dword v105, off, s[40:43], 0 offset:52 ; 4-byte Folded Spill
	buffer_store_dword v106, off, s[40:43], 0 offset:56 ; 4-byte Folded Spill
	;; [unrolled: 1-line block ×3, first 2 shown]
	v_fma_f64 v[54:55], v[66:67], v[36:37], -v[54:55]
	s_mov_b32 s39, 0x3fd207e7
	s_waitcnt vmcnt(18)
	v_mul_f64 v[60:61], v[74:75], v[18:19]
	s_mov_b32 s38, s30
	s_mov_b32 s37, 0x3fefac9e
	;; [unrolled: 1-line block ×5, first 2 shown]
	v_mul_lo_u16_e32 v0, 11, v248
	v_lshlrev_b32_e32 v251, 4, v0
	v_fma_f64 v[60:61], v[72:73], v[16:17], v[60:61]
	s_waitcnt vmcnt(15)
	v_mul_f64 v[64:65], v[78:79], v[42:43]
	s_waitcnt vmcnt(14)
	v_mul_f64 v[68:69], v[82:83], v[7:8]
	v_mul_f64 v[66:67], v[76:77], v[42:43]
	v_fma_f64 v[64:65], v[76:77], v[40:41], v[64:65]
	v_fma_f64 v[68:69], v[80:81], v[5:6], v[68:69]
	v_fma_f64 v[66:67], v[78:79], v[40:41], -v[66:67]
	s_waitcnt vmcnt(12)
	v_mul_f64 v[88:89], v[86:87], v[30:31]
	v_fma_f64 v[46:47], v[58:59], v[9:10], -v[46:47]
	v_fma_f64 v[50:51], v[62:63], v[100:101], -v[50:51]
	v_mul_f64 v[62:63], v[72:73], v[18:19]
	v_fma_f64 v[72:73], v[84:85], v[28:29], v[88:89]
	v_fma_f64 v[62:63], v[74:75], v[16:17], -v[62:63]
	v_fma_f64 v[58:59], v[70:71], v[104:105], -v[90:91]
	v_mul_f64 v[70:71], v[80:81], v[7:8]
	buffer_store_dword v5, off, s[40:43], 0 ; 4-byte Folded Spill
	s_nop 0
	buffer_store_dword v6, off, s[40:43], 0 offset:4 ; 4-byte Folded Spill
	buffer_store_dword v7, off, s[40:43], 0 offset:8 ; 4-byte Folded Spill
	;; [unrolled: 1-line block ×3, first 2 shown]
	v_mul_f64 v[90:91], v[84:85], v[30:31]
	v_fma_f64 v[74:75], v[86:87], v[28:29], -v[90:91]
	v_fma_f64 v[70:71], v[82:83], v[5:6], -v[70:71]
	ds_write_b128 v247, v[44:47] offset:7920
	ds_write_b128 v247, v[48:51] offset:10560
	;; [unrolled: 1-line block ×8, first 2 shown]
	s_waitcnt vmcnt(0) lgkmcnt(0)
	s_barrier
	ds_read_b128 v[48:51], v247
	ds_read_b128 v[52:55], v247 offset:2640
	ds_read_b128 v[56:59], v247 offset:5280
	;; [unrolled: 1-line block ×10, first 2 shown]
	s_waitcnt lgkmcnt(9)
	v_add_f64 v[44:45], v[48:49], v[52:53]
	v_add_f64 v[46:47], v[50:51], v[54:55]
	s_waitcnt lgkmcnt(0)
	v_add_f64 v[94:95], v[54:55], -v[88:89]
	v_add_f64 v[96:97], v[52:53], v[86:87]
	v_add_f64 v[112:113], v[56:57], v[90:91]
	;; [unrolled: 1-line block ×3, first 2 shown]
	s_barrier
	v_add_f64 v[44:45], v[44:45], v[56:57]
	v_add_f64 v[46:47], v[46:47], v[58:59]
	v_mul_f64 v[60:61], v[94:95], s[6:7]
	v_mul_f64 v[104:105], v[94:95], s[20:21]
	;; [unrolled: 1-line block ×3, first 2 shown]
	v_add_f64 v[44:45], v[44:45], v[62:63]
	v_add_f64 v[46:47], v[46:47], v[64:65]
	v_fma_f64 v[98:99], v[96:97], s[22:23], -v[60:61]
	v_fma_f64 v[102:103], v[96:97], s[22:23], v[60:61]
	v_add_f64 v[60:61], v[64:65], v[84:85]
	v_add_f64 v[64:65], v[64:65], -v[84:85]
	v_add_f64 v[44:45], v[44:45], v[66:67]
	v_add_f64 v[46:47], v[46:47], v[68:69]
	;; [unrolled: 1-line block ×11, first 2 shown]
	v_fma_f64 v[84:85], v[96:97], s[26:27], v[110:111]
	v_add_f64 v[44:45], v[44:45], v[90:91]
	v_add_f64 v[46:47], v[46:47], v[92:93]
	v_add_f64 v[90:91], v[56:57], -v[90:91]
	v_add_f64 v[56:57], v[66:67], -v[78:79]
	;; [unrolled: 1-line block ×3, first 2 shown]
	v_add_f64 v[58:59], v[62:63], v[82:83]
	v_add_f64 v[82:83], v[62:63], -v[82:83]
	v_add_f64 v[62:63], v[68:69], -v[80:81]
	v_add_f64 v[44:45], v[44:45], v[86:87]
	v_add_f64 v[86:87], v[52:53], -v[86:87]
	v_mul_f64 v[52:53], v[94:95], s[16:17]
	v_add_f64 v[46:47], v[46:47], v[88:89]
	v_add_f64 v[88:89], v[54:55], v[88:89]
	;; [unrolled: 1-line block ×3, first 2 shown]
	v_add_f64 v[68:69], v[72:73], -v[76:77]
	v_add_f64 v[72:73], v[72:73], v[76:77]
	v_fma_f64 v[76:77], v[96:97], s[0:1], v[104:105]
	v_mul_f64 v[100:101], v[86:87], s[6:7]
	v_fma_f64 v[106:107], v[96:97], s[18:19], -v[52:53]
	v_fma_f64 v[108:109], v[96:97], s[18:19], v[52:53]
	v_add_f64 v[52:53], v[66:67], v[78:79]
	v_add_f64 v[78:79], v[70:71], -v[74:75]
	v_add_f64 v[74:75], v[70:71], v[74:75]
	v_mul_f64 v[70:71], v[94:95], s[30:31]
	v_mul_f64 v[94:95], v[86:87], s[16:17]
	v_fma_f64 v[66:67], v[96:97], s[0:1], -v[104:105]
	v_fma_f64 v[80:81], v[96:97], s[26:27], -v[110:111]
	v_mul_f64 v[110:111], v[86:87], s[20:21]
	v_fma_f64 v[116:117], v[88:89], s[22:23], v[100:101]
	v_fma_f64 v[100:101], v[88:89], s[22:23], -v[100:101]
	v_mul_f64 v[126:127], v[90:91], s[16:17]
	v_fma_f64 v[104:105], v[96:97], s[28:29], -v[70:71]
	v_fma_f64 v[70:71], v[96:97], s[28:29], v[70:71]
	v_mul_f64 v[96:97], v[86:87], s[24:25]
	v_mul_f64 v[86:87], v[86:87], s[30:31]
	v_fma_f64 v[118:119], v[88:89], s[18:19], v[94:95]
	v_fma_f64 v[94:95], v[88:89], s[18:19], -v[94:95]
	v_fma_f64 v[120:121], v[88:89], s[0:1], v[110:111]
	v_fma_f64 v[110:111], v[88:89], s[0:1], -v[110:111]
	v_add_f64 v[100:101], v[50:51], v[100:101]
	v_add_f64 v[106:107], v[48:49], v[106:107]
	v_fma_f64 v[122:123], v[88:89], s[26:27], v[96:97]
	v_fma_f64 v[96:97], v[88:89], s[26:27], -v[96:97]
	v_fma_f64 v[124:125], v[88:89], s[28:29], v[86:87]
	v_fma_f64 v[86:87], v[88:89], s[28:29], -v[86:87]
	v_add_f64 v[88:89], v[48:49], v[98:99]
	v_add_f64 v[98:99], v[50:51], v[116:117]
	;; [unrolled: 1-line block ×3, first 2 shown]
	v_mul_f64 v[118:119], v[92:93], s[16:17]
	v_add_f64 v[108:109], v[48:49], v[108:109]
	v_add_f64 v[94:95], v[50:51], v[94:95]
	;; [unrolled: 1-line block ×7, first 2 shown]
	v_fma_f64 v[128:129], v[112:113], s[18:19], -v[118:119]
	v_add_f64 v[122:123], v[50:51], v[122:123]
	v_add_f64 v[84:85], v[48:49], v[84:85]
	;; [unrolled: 1-line block ×6, first 2 shown]
	v_fma_f64 v[70:71], v[114:115], s[18:19], v[126:127]
	v_add_f64 v[50:51], v[50:51], v[86:87]
	v_add_f64 v[86:87], v[128:129], v[88:89]
	v_mul_f64 v[88:89], v[92:93], s[24:25]
	v_mul_f64 v[128:129], v[90:91], s[24:25]
	;; [unrolled: 1-line block ×4, first 2 shown]
	s_mov_b32 s17, 0x3fed1bb4
	v_add_f64 v[70:71], v[70:71], v[98:99]
	v_fma_f64 v[98:99], v[112:113], s[18:19], v[118:119]
	v_fma_f64 v[118:119], v[114:115], s[18:19], -v[126:127]
	v_fma_f64 v[126:127], v[112:113], s[26:27], -v[88:89]
	v_fma_f64 v[132:133], v[114:115], s[26:27], v[128:129]
	v_fma_f64 v[88:89], v[112:113], s[26:27], v[88:89]
	v_fma_f64 v[128:129], v[114:115], s[26:27], -v[128:129]
	v_fma_f64 v[134:135], v[112:113], s[28:29], -v[130:131]
	v_add_f64 v[98:99], v[98:99], v[102:103]
	v_add_f64 v[100:101], v[118:119], v[100:101]
	;; [unrolled: 1-line block ×6, first 2 shown]
	v_fma_f64 v[108:109], v[114:115], s[28:29], v[136:137]
	v_fma_f64 v[116:117], v[112:113], s[28:29], v[130:131]
	v_fma_f64 v[118:119], v[114:115], s[28:29], -v[136:137]
	v_mul_f64 v[126:127], v[92:93], s[36:37]
	v_mul_f64 v[92:93], v[92:93], s[34:35]
	;; [unrolled: 1-line block ×4, first 2 shown]
	v_add_f64 v[66:67], v[134:135], v[66:67]
	v_add_f64 v[108:109], v[108:109], v[120:121]
	;; [unrolled: 1-line block ×4, first 2 shown]
	v_fma_f64 v[116:117], v[112:113], s[0:1], -v[126:127]
	v_fma_f64 v[118:119], v[112:113], s[0:1], v[126:127]
	v_fma_f64 v[120:121], v[112:113], s[22:23], -v[92:93]
	v_fma_f64 v[126:127], v[114:115], s[0:1], v[128:129]
	v_fma_f64 v[92:93], v[112:113], s[22:23], v[92:93]
	v_fma_f64 v[112:113], v[114:115], s[0:1], -v[128:129]
	v_mul_f64 v[128:129], v[64:65], s[20:21]
	v_fma_f64 v[130:131], v[114:115], s[22:23], v[90:91]
	v_fma_f64 v[90:91], v[114:115], s[22:23], -v[90:91]
	v_mul_f64 v[114:115], v[82:83], s[20:21]
	v_add_f64 v[80:81], v[116:117], v[80:81]
	v_add_f64 v[116:117], v[126:127], v[122:123]
	;; [unrolled: 1-line block ×4, first 2 shown]
	v_fma_f64 v[112:113], v[58:59], s[0:1], -v[128:129]
	v_mul_f64 v[122:123], v[64:65], s[38:39]
	v_add_f64 v[50:51], v[90:91], v[50:51]
	v_fma_f64 v[120:121], v[60:61], s[0:1], v[114:115]
	v_mul_f64 v[90:91], v[82:83], s[38:39]
	v_add_f64 v[84:85], v[118:119], v[84:85]
	v_add_f64 v[118:119], v[130:131], v[124:125]
	;; [unrolled: 1-line block ×4, first 2 shown]
	v_fma_f64 v[92:93], v[58:59], s[0:1], v[128:129]
	v_fma_f64 v[112:113], v[60:61], s[0:1], -v[114:115]
	v_add_f64 v[70:71], v[120:121], v[70:71]
	v_fma_f64 v[114:115], v[58:59], s[28:29], -v[122:123]
	v_mul_f64 v[120:121], v[64:65], s[16:17]
	v_fma_f64 v[124:125], v[60:61], s[28:29], v[90:91]
	v_mul_f64 v[126:127], v[82:83], s[16:17]
	v_fma_f64 v[90:91], v[60:61], s[28:29], -v[90:91]
	v_add_f64 v[92:93], v[92:93], v[98:99]
	v_add_f64 v[98:99], v[112:113], v[100:101]
	v_fma_f64 v[100:101], v[58:59], s[28:29], v[122:123]
	v_add_f64 v[102:103], v[114:115], v[102:103]
	v_fma_f64 v[112:113], v[58:59], s[18:19], -v[120:121]
	v_add_f64 v[106:107], v[124:125], v[106:107]
	v_fma_f64 v[114:115], v[60:61], s[18:19], v[126:127]
	v_mul_f64 v[122:123], v[64:65], s[6:7]
	v_mul_f64 v[124:125], v[82:83], s[6:7]
	v_add_f64 v[90:91], v[90:91], v[94:95]
	v_fma_f64 v[94:95], v[58:59], s[18:19], v[120:121]
	v_add_f64 v[88:89], v[100:101], v[88:89]
	v_add_f64 v[66:67], v[112:113], v[66:67]
	v_fma_f64 v[100:101], v[60:61], s[18:19], -v[126:127]
	v_add_f64 v[108:109], v[114:115], v[108:109]
	v_fma_f64 v[112:113], v[58:59], s[22:23], -v[122:123]
	v_fma_f64 v[114:115], v[60:61], s[22:23], v[124:125]
	v_mul_f64 v[64:65], v[64:65], s[24:25]
	v_mul_f64 v[82:83], v[82:83], s[24:25]
	v_add_f64 v[76:77], v[94:95], v[76:77]
	v_fma_f64 v[94:95], v[58:59], s[22:23], v[122:123]
	v_add_f64 v[100:101], v[100:101], v[110:111]
	v_fma_f64 v[110:111], v[60:61], s[22:23], -v[124:125]
	v_add_f64 v[80:81], v[112:113], v[80:81]
	v_add_f64 v[112:113], v[114:115], v[116:117]
	v_fma_f64 v[114:115], v[58:59], s[26:27], -v[64:65]
	v_fma_f64 v[116:117], v[60:61], s[26:27], v[82:83]
	v_mul_f64 v[120:121], v[62:63], s[24:25]
	v_add_f64 v[84:85], v[94:95], v[84:85]
	v_mul_f64 v[94:95], v[56:57], s[24:25]
	v_add_f64 v[96:97], v[110:111], v[96:97]
	v_fma_f64 v[58:59], v[58:59], s[26:27], v[64:65]
	v_fma_f64 v[60:61], v[60:61], s[26:27], -v[82:83]
	v_add_f64 v[64:65], v[114:115], v[104:105]
	v_add_f64 v[82:83], v[116:117], v[118:119]
	v_fma_f64 v[104:105], v[52:53], s[26:27], -v[120:121]
	v_mul_f64 v[110:111], v[62:63], s[36:37]
	v_fma_f64 v[114:115], v[54:55], s[26:27], v[94:95]
	v_mul_f64 v[116:117], v[56:57], s[36:37]
	v_add_f64 v[48:49], v[58:59], v[48:49]
	v_add_f64 v[50:51], v[60:61], v[50:51]
	v_fma_f64 v[58:59], v[52:53], s[26:27], v[120:121]
	v_fma_f64 v[60:61], v[54:55], s[26:27], -v[94:95]
	v_add_f64 v[86:87], v[104:105], v[86:87]
	v_fma_f64 v[94:95], v[52:53], s[0:1], -v[110:111]
	v_add_f64 v[70:71], v[114:115], v[70:71]
	v_fma_f64 v[104:105], v[54:55], s[0:1], v[116:117]
	v_mul_f64 v[114:115], v[62:63], s[6:7]
	v_mul_f64 v[118:119], v[56:57], s[6:7]
	v_add_f64 v[92:93], v[58:59], v[92:93]
	v_add_f64 v[60:61], v[60:61], v[98:99]
	v_fma_f64 v[58:59], v[52:53], s[0:1], v[110:111]
	v_add_f64 v[94:95], v[94:95], v[102:103]
	v_fma_f64 v[98:99], v[54:55], s[0:1], -v[116:117]
	v_add_f64 v[102:103], v[104:105], v[106:107]
	v_fma_f64 v[104:105], v[52:53], s[22:23], -v[114:115]
	v_fma_f64 v[106:107], v[54:55], s[22:23], v[118:119]
	v_mul_f64 v[110:111], v[62:63], s[30:31]
	v_mul_f64 v[116:117], v[56:57], s[30:31]
	v_add_f64 v[88:89], v[58:59], v[88:89]
	v_mul_f64 v[62:63], v[62:63], s[16:17]
	v_add_f64 v[90:91], v[98:99], v[90:91]
	;; [unrolled: 2-line block ×3, first 2 shown]
	v_add_f64 v[98:99], v[106:107], v[108:109]
	v_fma_f64 v[58:59], v[52:53], s[28:29], -v[110:111]
	v_fma_f64 v[104:105], v[54:55], s[28:29], v[116:117]
	v_fma_f64 v[106:107], v[52:53], s[28:29], v[110:111]
	v_fma_f64 v[108:109], v[54:55], s[28:29], -v[116:117]
	v_mul_f64 v[110:111], v[68:69], s[30:31]
	v_fma_f64 v[114:115], v[52:53], s[22:23], v[114:115]
	v_fma_f64 v[118:119], v[54:55], s[22:23], -v[118:119]
	s_load_dwordx2 s[6:7], s[4:5], 0x38
	v_add_f64 v[80:81], v[58:59], v[80:81]
	v_add_f64 v[104:105], v[104:105], v[112:113]
	v_mul_f64 v[112:113], v[78:79], s[30:31]
	v_add_f64 v[84:85], v[106:107], v[84:85]
	v_fma_f64 v[58:59], v[52:53], s[18:19], -v[62:63]
	v_fma_f64 v[106:107], v[54:55], s[18:19], v[56:57]
	v_add_f64 v[96:97], v[108:109], v[96:97]
	v_fma_f64 v[52:53], v[52:53], s[18:19], v[62:63]
	v_fma_f64 v[54:55], v[54:55], s[18:19], -v[56:57]
	v_fma_f64 v[56:57], v[74:75], s[28:29], -v[110:111]
	v_fma_f64 v[62:63], v[72:73], s[28:29], v[112:113]
	v_add_f64 v[76:77], v[114:115], v[76:77]
	v_add_f64 v[108:109], v[58:59], v[64:65]
	v_add_f64 v[82:83], v[106:107], v[82:83]
	v_mul_f64 v[64:65], v[68:69], s[34:35]
	v_mul_f64 v[106:107], v[78:79], s[34:35]
	v_add_f64 v[114:115], v[52:53], v[48:49]
	v_add_f64 v[116:117], v[54:55], v[50:51]
	;; [unrolled: 1-line block ×4, first 2 shown]
	v_fma_f64 v[48:49], v[74:75], s[28:29], v[110:111]
	v_fma_f64 v[50:51], v[72:73], s[28:29], -v[112:113]
	v_fma_f64 v[62:63], v[74:75], s[22:23], -v[64:65]
	v_fma_f64 v[70:71], v[72:73], s[22:23], v[106:107]
	v_mul_f64 v[86:87], v[68:69], s[24:25]
	v_mul_f64 v[110:111], v[78:79], s[24:25]
	v_fma_f64 v[106:107], v[72:73], s[22:23], -v[106:107]
	v_fma_f64 v[64:65], v[74:75], s[22:23], v[64:65]
	v_add_f64 v[52:53], v[48:49], v[92:93]
	v_add_f64 v[54:55], v[50:51], v[60:61]
	;; [unrolled: 1-line block ×4, first 2 shown]
	v_fma_f64 v[70:71], v[74:75], s[26:27], -v[86:87]
	v_fma_f64 v[92:93], v[72:73], s[26:27], v[110:111]
	v_add_f64 v[50:51], v[106:107], v[90:91]
	v_fma_f64 v[86:87], v[74:75], s[26:27], v[86:87]
	v_mul_f64 v[90:91], v[68:69], s[16:17]
	v_mul_f64 v[94:95], v[78:79], s[16:17]
	v_add_f64 v[100:101], v[118:119], v[100:101]
	v_add_f64 v[48:49], v[64:65], v[88:89]
	v_fma_f64 v[88:89], v[72:73], s[26:27], -v[110:111]
	v_add_f64 v[64:65], v[70:71], v[66:67]
	v_add_f64 v[66:67], v[92:93], v[98:99]
	v_mul_f64 v[92:93], v[68:69], s[20:21]
	v_mul_f64 v[78:79], v[78:79], s[20:21]
	v_add_f64 v[68:69], v[86:87], v[76:77]
	v_fma_f64 v[76:77], v[74:75], s[18:19], -v[90:91]
	v_fma_f64 v[86:87], v[72:73], s[18:19], v[94:95]
	v_add_f64 v[70:71], v[88:89], v[100:101]
	v_fma_f64 v[88:89], v[74:75], s[18:19], v[90:91]
	v_fma_f64 v[90:91], v[72:73], s[18:19], -v[94:95]
	v_fma_f64 v[94:95], v[74:75], s[0:1], -v[92:93]
	v_fma_f64 v[98:99], v[72:73], s[0:1], v[78:79]
	v_fma_f64 v[92:93], v[74:75], s[0:1], v[92:93]
	v_fma_f64 v[100:101], v[72:73], s[0:1], -v[78:79]
	v_add_f64 v[72:73], v[76:77], v[80:81]
	v_add_f64 v[74:75], v[86:87], v[104:105]
	;; [unrolled: 1-line block ×8, first 2 shown]
	ds_write_b128 v251, v[44:47]
	ds_write_b128 v251, v[56:59] offset:16
	ds_write_b128 v251, v[60:63] offset:32
	;; [unrolled: 1-line block ×10, first 2 shown]
	s_waitcnt lgkmcnt(0)
	s_barrier
	ds_read_b128 v[44:47], v247
	ds_read_b128 v[56:59], v247 offset:2640
	ds_read_b128 v[96:99], v247 offset:19360
	;; [unrolled: 1-line block ×8, first 2 shown]
	s_movk_i32 s0, 0x6e
	v_cmp_gt_u16_e64 s[0:1], s0, v248
                                        ; implicit-def: $vgpr120_vgpr121
	s_and_saveexec_b64 s[4:5], s[0:1]
	s_cbranch_execz .LBB0_3
; %bb.2:
	ds_read_b128 v[48:51], v247 offset:7920
	ds_read_b128 v[52:55], v247 offset:17600
	ds_read_b128 v[120:123], v247 offset:27280
.LBB0_3:
	s_or_b64 exec, exec, s[4:5]
	s_movk_i32 s4, 0x75
	v_add_co_u32_e32 v184, vcc, 0xa5, v248
	v_mul_lo_u16_sdwa v0, v248, s4 dst_sel:DWORD dst_unused:UNUSED_PAD src0_sel:BYTE_0 src1_sel:DWORD
	s_mov_b32 s4, 0xba2f
	v_mul_u32_u24_sdwa v2, v184, s4 dst_sel:DWORD dst_unused:UNUSED_PAD src0_sel:WORD_0 src1_sel:DWORD
	v_lshrrev_b32_e32 v2, 19, v2
	v_mul_lo_u16_e32 v3, 11, v2
	v_sub_u16_e32 v3, v184, v3
	v_lshlrev_b16_e32 v4, 1, v3
	v_lshlrev_b32_e32 v4, 4, v4
	v_add_u16_e32 v185, 0x14a, v248
	global_load_dwordx4 v[60:63], v4, s[14:15] offset:16
	global_load_dwordx4 v[64:67], v4, s[14:15]
	v_mul_u32_u24_e32 v4, 0xba2f, v185
	v_lshrrev_b32_e32 v4, 19, v4
	v_mul_lo_u16_e32 v5, 11, v4
	v_sub_u16_e32 v5, v185, v5
	v_lshlrev_b16_e32 v6, 1, v5
	v_sub_u16_sdwa v1, v248, v0 dst_sel:DWORD dst_unused:UNUSED_PAD src0_sel:DWORD src1_sel:BYTE_1
	v_lshlrev_b32_e32 v6, 4, v6
	v_lshrrev_b16_e32 v1, 1, v1
	global_load_dwordx4 v[68:71], v6, s[14:15] offset:16
	global_load_dwordx4 v[72:75], v6, s[14:15]
	v_add_u16_e32 v6, 0x1ef, v248
	v_and_b32_e32 v1, 0x7f, v1
	v_mul_u32_u24_e32 v7, 0xba2f, v6
	v_add_u16_sdwa v0, v1, v0 dst_sel:DWORD dst_unused:UNUSED_PAD src0_sel:DWORD src1_sel:BYTE_1
	v_lshrrev_b32_e32 v7, 19, v7
	v_lshrrev_b16_e32 v0, 3, v0
	buffer_store_dword v7, off, s[40:43], 0 offset:64 ; 4-byte Folded Spill
	v_mul_lo_u16_e32 v7, 11, v7
	v_mul_lo_u16_e32 v1, 11, v0
	v_sub_u16_e32 v6, v6, v7
	buffer_store_dword v6, off, s[40:43], 0 offset:68 ; 4-byte Folded Spill
	v_lshlrev_b16_e32 v6, 1, v6
	v_sub_u16_e32 v1, v248, v1
	v_lshlrev_b32_e32 v6, 4, v6
	v_and_b32_e32 v1, 0xff, v1
	global_load_dwordx4 v[76:79], v6, s[14:15] offset:16
	global_load_dwordx4 v[80:83], v6, s[14:15]
	v_lshlrev_b32_e32 v6, 5, v1
	global_load_dwordx4 v[88:91], v6, s[14:15]
	global_load_dwordx4 v[84:87], v6, s[14:15] offset:16
	s_mov_b32 s4, 0xe8584caa
	s_mov_b32 s5, 0x3febb67a
	;; [unrolled: 1-line block ×4, first 2 shown]
	v_mul_u32_u24_e32 v0, 33, v0
	v_add_lshl_u32 v0, v0, v1, 4
	s_waitcnt vmcnt(0) lgkmcnt(0)
	s_barrier
	v_mul_f64 v[128:129], v[106:107], v[62:63]
	v_mul_f64 v[124:125], v[118:119], v[66:67]
	;; [unrolled: 1-line block ×8, first 2 shown]
	v_fma_f64 v[116:117], v[116:117], v[64:65], -v[124:125]
	v_fma_f64 v[118:119], v[118:119], v[64:65], v[126:127]
	v_fma_f64 v[124:125], v[104:105], v[60:61], -v[128:129]
	v_fma_f64 v[126:127], v[106:107], v[60:61], v[130:131]
	v_fma_f64 v[110:111], v[110:111], v[68:69], v[138:139]
	;; [unrolled: 1-line block ×3, first 2 shown]
	v_fma_f64 v[112:113], v[112:113], v[72:73], -v[132:133]
	v_fma_f64 v[108:109], v[108:109], v[68:69], -v[136:137]
	v_add_f64 v[130:131], v[58:59], v[118:119]
	v_add_f64 v[128:129], v[118:119], -v[126:127]
	v_mul_f64 v[144:145], v[122:123], v[78:79]
	v_mul_f64 v[142:143], v[52:53], v[82:83]
	;; [unrolled: 1-line block ×8, first 2 shown]
	v_add_f64 v[118:119], v[118:119], v[126:127]
	v_fma_f64 v[106:107], v[54:55], v[80:81], v[142:143]
	v_fma_f64 v[54:55], v[120:121], v[76:77], -v[144:145]
	v_fma_f64 v[104:105], v[122:123], v[76:77], v[146:147]
	v_fma_f64 v[100:101], v[100:101], v[88:89], -v[148:149]
	;; [unrolled: 2-line block ×4, first 2 shown]
	v_add_f64 v[136:137], v[114:115], -v[110:111]
	v_add_f64 v[138:139], v[94:95], v[114:115]
	v_add_f64 v[114:115], v[114:115], v[110:111]
	;; [unrolled: 1-line block ×5, first 2 shown]
	v_add_f64 v[152:153], v[102:103], -v[122:123]
	v_add_f64 v[102:103], v[102:103], v[122:123]
	v_add_f64 v[96:97], v[56:57], v[116:117]
	;; [unrolled: 1-line block ×4, first 2 shown]
	v_add_f64 v[140:141], v[112:113], -v[108:109]
	v_add_f64 v[112:113], v[52:53], v[54:55]
	v_add_f64 v[144:145], v[106:107], v[104:105]
	v_add_f64 v[116:117], v[116:117], -v[124:125]
	v_add_f64 v[148:149], v[44:45], v[100:101]
	v_add_f64 v[156:157], v[100:101], -v[120:121]
	v_fma_f64 v[118:119], v[118:119], -0.5, v[58:59]
	v_add_f64 v[58:59], v[138:139], v[110:111]
	v_fma_f64 v[114:115], v[114:115], -0.5, v[94:95]
	v_fma_f64 v[110:111], v[150:151], -0.5, v[44:45]
	v_add_f64 v[94:95], v[154:155], v[122:123]
	v_fma_f64 v[122:123], v[102:103], -0.5, v[46:47]
	v_fma_f64 v[100:101], v[98:99], -0.5, v[56:57]
	v_add_f64 v[142:143], v[106:107], -v[104:105]
	v_add_f64 v[146:147], v[52:53], -v[54:55]
	v_add_f64 v[96:97], v[96:97], v[124:125]
	v_add_f64 v[98:99], v[130:131], v[126:127]
	v_fma_f64 v[124:125], v[134:135], -0.5, v[92:93]
	v_fma_f64 v[126:127], v[112:113], -0.5, v[48:49]
	;; [unrolled: 1-line block ×3, first 2 shown]
	v_add_f64 v[92:93], v[148:149], v[120:121]
	v_fma_f64 v[46:47], v[116:117], s[16:17], v[118:119]
	v_fma_f64 v[102:103], v[116:117], s[4:5], v[118:119]
	;; [unrolled: 1-line block ×8, first 2 shown]
	v_add_f64 v[56:57], v[132:133], v[108:109]
	v_fma_f64 v[108:109], v[136:137], s[4:5], v[124:125]
	v_fma_f64 v[112:113], v[136:137], s[16:17], v[124:125]
	;; [unrolled: 1-line block ×8, first 2 shown]
	ds_write_b128 v0, v[92:95]
	ds_write_b128 v0, v[116:119] offset:176
	buffer_store_dword v0, off, s[40:43], 0 offset:72 ; 4-byte Folded Spill
	ds_write_b128 v0, v[120:123] offset:352
	v_mad_legacy_u16 v0, v2, 33, v3
	v_lshlrev_b32_e32 v0, 4, v0
	ds_write_b128 v0, v[96:99]
	ds_write_b128 v0, v[44:47] offset:176
	buffer_store_dword v0, off, s[40:43], 0 offset:76 ; 4-byte Folded Spill
	ds_write_b128 v0, v[100:103] offset:352
	v_mad_legacy_u16 v0, v4, 33, v5
	v_lshlrev_b32_e32 v0, 4, v0
	ds_write_b128 v0, v[56:59]
	ds_write_b128 v0, v[108:111] offset:176
	buffer_store_dword v0, off, s[40:43], 0 offset:80 ; 4-byte Folded Spill
	ds_write_b128 v0, v[112:115] offset:352
	s_and_saveexec_b64 s[4:5], s[0:1]
	s_cbranch_execz .LBB0_5
; %bb.4:
	buffer_load_dword v0, off, s[40:43], 0 offset:64 ; 4-byte Folded Reload
	buffer_load_dword v1, off, s[40:43], 0 offset:68 ; 4-byte Folded Reload
	v_add_f64 v[44:45], v[50:51], v[106:107]
	v_add_f64 v[48:49], v[48:49], v[52:53]
	;; [unrolled: 1-line block ×4, first 2 shown]
	s_waitcnt vmcnt(0)
	v_mad_legacy_u16 v0, v0, 33, v1
	v_lshlrev_b32_e32 v0, 4, v0
	ds_write_b128 v0, v[124:127] offset:176
	ds_write_b128 v0, v[44:47]
	ds_write_b128 v0, v[132:135] offset:352
.LBB0_5:
	s_or_b64 exec, exec, s[4:5]
	s_waitcnt vmcnt(0) lgkmcnt(0)
	s_barrier
	ds_read_b128 v[136:139], v247
	ds_read_b128 v[128:131], v247 offset:2640
	ds_read_b128 v[156:159], v247 offset:5808
	;; [unrolled: 1-line block ×9, first 2 shown]
	v_cmp_gt_u16_e32 vcc, 33, v248
                                        ; implicit-def: $vgpr172_vgpr173
                                        ; implicit-def: $vgpr176_vgpr177
                                        ; implicit-def: $vgpr180_vgpr181
	s_and_saveexec_b64 s[4:5], vcc
	s_cbranch_execz .LBB0_7
; %bb.6:
	ds_read_b128 v[124:127], v247 offset:5280
	ds_read_b128 v[132:135], v247 offset:11088
	;; [unrolled: 1-line block ×5, first 2 shown]
.LBB0_7:
	s_or_b64 exec, exec, s[4:5]
	v_mul_u32_u24_e32 v2, 0xf83f, v185
	s_movk_i32 s4, 0xf9
	v_lshrrev_b32_e32 v2, 21, v2
	v_mul_lo_u16_sdwa v0, v248, s4 dst_sel:DWORD dst_unused:UNUSED_PAD src0_sel:BYTE_0 src1_sel:DWORD
	v_mul_lo_u16_e32 v2, 33, v2
	v_lshrrev_b16_e32 v190, 13, v0
	v_sub_u16_e32 v192, v185, v2
	v_mul_lo_u16_e32 v0, 33, v190
	v_lshlrev_b16_e32 v2, 6, v192
	v_sub_u16_e32 v0, v248, v0
	v_mov_b32_e32 v1, s15
	v_add_co_u32_e64 v56, s[4:5], s14, v2
	v_and_b32_e32 v191, 0xff, v0
	v_addc_co_u32_e64 v57, s[4:5], 0, v1, s[4:5]
	v_lshlrev_b32_e32 v0, 6, v191
	global_load_dwordx4 v[44:47], v[56:57], off offset:368
	global_load_dwordx4 v[48:51], v[56:57], off offset:352
	global_load_dwordx4 v[108:111], v0, s[14:15] offset:400
	global_load_dwordx4 v[112:115], v0, s[14:15] offset:384
	global_load_dwordx4 v[52:55], v[56:57], off offset:400
	s_nop 0
	global_load_dwordx4 v[56:59], v[56:57], off offset:384
	s_nop 0
	global_load_dwordx4 v[116:119], v0, s[14:15] offset:368
	global_load_dwordx4 v[120:123], v0, s[14:15] offset:352
	s_mov_b32 s4, 0xf83f
	v_mul_u32_u24_sdwa v0, v184, s4 dst_sel:DWORD dst_unused:UNUSED_PAD src0_sel:WORD_0 src1_sel:DWORD
	v_lshrrev_b32_e32 v0, 21, v0
	v_mul_lo_u16_e32 v2, 33, v0
	v_sub_u16_e32 v2, v184, v2
	v_lshlrev_b16_e32 v3, 6, v2
	v_add_co_u32_e64 v92, s[4:5], s14, v3
	v_addc_co_u32_e64 v93, s[4:5], 0, v1, s[4:5]
	global_load_dwordx4 v[104:107], v[92:93], off offset:352
	global_load_dwordx4 v[100:103], v[92:93], off offset:368
	;; [unrolled: 1-line block ×3, first 2 shown]
	s_nop 0
	global_load_dwordx4 v[92:95], v[92:93], off offset:400
	s_mov_b32 s18, 0x134454ff
	s_mov_b32 s19, 0x3fee6f0e
	;; [unrolled: 1-line block ×10, first 2 shown]
	v_mul_u32_u24_e32 v1, 0xa5, v190
	v_add_lshl_u32 v249, v1, v191, 4
	s_waitcnt vmcnt(0) lgkmcnt(0)
	s_barrier
	v_mul_f64 v[193:194], v[174:175], v[46:47]
	v_mul_f64 v[186:187], v[132:133], v[50:51]
	;; [unrolled: 1-line block ×12, first 2 shown]
	v_fma_f64 v[164:165], v[164:165], v[112:113], -v[213:214]
	v_fma_f64 v[168:169], v[168:169], v[108:109], -v[217:218]
	v_fma_f64 v[160:161], v[160:161], v[116:117], -v[209:210]
	v_mul_f64 v[225:226], v[140:141], v[106:107]
	v_fma_f64 v[156:157], v[156:157], v[120:121], -v[205:206]
	v_mul_f64 v[184:185], v[134:135], v[50:51]
	v_mul_f64 v[195:196], v[172:173], v[46:47]
	;; [unrolled: 1-line block ×7, first 2 shown]
	v_fma_f64 v[188:189], v[134:135], v[48:49], v[186:187]
	v_fma_f64 v[134:135], v[172:173], v[44:45], -v[193:194]
	v_fma_f64 v[172:173], v[176:177], v[56:57], -v[197:198]
	v_fma_f64 v[186:187], v[178:179], v[56:57], v[199:200]
	v_fma_f64 v[158:159], v[158:159], v[120:121], v[207:208]
	;; [unrolled: 1-line block ×6, first 2 shown]
	v_add_f64 v[142:143], v[160:161], v[164:165]
	v_add_f64 v[197:198], v[156:157], v[168:169]
	v_fma_f64 v[132:133], v[132:133], v[48:49], -v[184:185]
	v_fma_f64 v[184:185], v[174:175], v[44:45], v[195:196]
	v_fma_f64 v[174:175], v[180:181], v[52:53], -v[201:202]
	v_fma_f64 v[180:181], v[182:183], v[52:53], v[203:204]
	v_fma_f64 v[176:177], v[140:141], v[104:105], -v[221:222]
	v_fma_f64 v[182:183], v[144:145], v[100:101], -v[227:228]
	v_fma_f64 v[195:196], v[146:147], v[100:101], v[229:230]
	v_add_f64 v[140:141], v[136:137], v[156:157]
	v_add_f64 v[144:145], v[158:159], -v[170:171]
	v_add_f64 v[146:147], v[162:163], -v[166:167]
	;; [unrolled: 1-line block ×4, first 2 shown]
	v_add_f64 v[205:206], v[138:139], v[158:159]
	v_fma_f64 v[142:143], v[142:143], -0.5, v[136:137]
	v_fma_f64 v[136:137], v[197:198], -0.5, v[136:137]
	v_add_f64 v[201:202], v[160:161], -v[156:157]
	v_add_f64 v[203:204], v[164:165], -v[168:169]
	v_add_f64 v[207:208], v[162:163], v[166:167]
	v_add_f64 v[197:198], v[160:161], -v[164:165]
	v_add_f64 v[140:141], v[140:141], v[160:161]
	v_add_f64 v[160:161], v[193:194], v[199:200]
	;; [unrolled: 1-line block ×3, first 2 shown]
	v_fma_f64 v[199:200], v[144:145], s[18:19], v[142:143]
	v_fma_f64 v[142:143], v[144:145], s[22:23], v[142:143]
	;; [unrolled: 1-line block ×4, first 2 shown]
	v_mul_f64 v[231:232], v[150:151], v[98:99]
	v_add_f64 v[156:157], v[156:157], -v[168:169]
	v_add_f64 v[209:210], v[158:159], v[170:171]
	v_add_f64 v[201:202], v[201:202], v[203:204]
	v_fma_f64 v[203:204], v[207:208], -0.5, v[138:139]
	v_add_f64 v[140:141], v[140:141], v[164:165]
	v_add_f64 v[164:165], v[193:194], v[166:167]
	v_fma_f64 v[193:194], v[146:147], s[4:5], v[199:200]
	v_fma_f64 v[142:143], v[146:147], s[20:21], v[142:143]
	;; [unrolled: 1-line block ×4, first 2 shown]
	v_mul_f64 v[233:234], v[148:149], v[98:99]
	v_mul_f64 v[235:236], v[154:155], v[94:95]
	;; [unrolled: 1-line block ×3, first 2 shown]
	v_fma_f64 v[148:149], v[148:149], v[96:97], -v[231:232]
	v_fma_f64 v[205:206], v[209:210], -0.5, v[138:139]
	v_fma_f64 v[207:208], v[156:157], s[22:23], v[203:204]
	v_add_f64 v[136:137], v[140:141], v[168:169]
	v_add_f64 v[138:139], v[164:165], v[170:171]
	v_fma_f64 v[140:141], v[160:161], s[16:17], v[193:194]
	v_fma_f64 v[144:145], v[160:161], s[16:17], v[142:143]
	v_fma_f64 v[160:161], v[201:202], s[16:17], v[146:147]
	v_fma_f64 v[164:165], v[201:202], s[16:17], v[199:200]
	v_add_f64 v[142:143], v[158:159], -v[162:163]
	v_add_f64 v[146:147], v[170:171], -v[166:167]
	v_fma_f64 v[168:169], v[156:157], s[18:19], v[203:204]
	v_add_f64 v[199:200], v[128:129], v[176:177]
	v_fma_f64 v[152:153], v[152:153], v[92:93], -v[235:236]
	v_fma_f64 v[154:155], v[154:155], v[92:93], v[237:238]
	v_fma_f64 v[193:194], v[197:198], s[20:21], v[207:208]
	v_add_f64 v[201:202], v[182:183], v[148:149]
	v_fma_f64 v[203:204], v[197:198], s[18:19], v[205:206]
	v_add_f64 v[158:159], v[162:163], -v[158:159]
	v_add_f64 v[162:163], v[166:167], -v[170:171]
	v_add_f64 v[146:147], v[142:143], v[146:147]
	v_fma_f64 v[166:167], v[197:198], s[4:5], v[168:169]
	v_fma_f64 v[168:169], v[197:198], s[22:23], v[205:206]
	v_add_f64 v[170:171], v[199:200], v[182:183]
	v_fma_f64 v[150:151], v[150:151], v[96:97], v[233:234]
	v_fma_f64 v[197:198], v[201:202], -0.5, v[128:129]
	v_add_f64 v[199:200], v[178:179], -v[154:155]
	v_fma_f64 v[201:202], v[156:157], s[20:21], v[203:204]
	v_add_f64 v[158:159], v[158:159], v[162:163]
	v_fma_f64 v[142:143], v[146:147], s[16:17], v[193:194]
	v_fma_f64 v[146:147], v[146:147], s[16:17], v[166:167]
	;; [unrolled: 1-line block ×3, first 2 shown]
	v_add_f64 v[166:167], v[176:177], v[152:153]
	v_add_f64 v[168:169], v[170:171], v[148:149]
	v_fma_f64 v[170:171], v[199:200], s[18:19], v[197:198]
	v_add_f64 v[193:194], v[195:196], -v[150:151]
	v_fma_f64 v[162:163], v[158:159], s[16:17], v[201:202]
	v_add_f64 v[201:202], v[176:177], -v[182:183]
	v_add_f64 v[203:204], v[152:153], -v[148:149]
	v_fma_f64 v[197:198], v[199:200], s[22:23], v[197:198]
	v_fma_f64 v[205:206], v[166:167], -0.5, v[128:129]
	v_fma_f64 v[166:167], v[158:159], s[16:17], v[156:157]
	v_add_f64 v[128:129], v[168:169], v[152:153]
	v_add_f64 v[158:159], v[130:131], v[178:179]
	v_add_f64 v[168:169], v[195:196], v[150:151]
	v_fma_f64 v[156:157], v[193:194], s[4:5], v[170:171]
	v_add_f64 v[170:171], v[201:202], v[203:204]
	v_fma_f64 v[197:198], v[193:194], s[20:21], v[197:198]
	v_fma_f64 v[201:202], v[193:194], s[22:23], v[205:206]
	v_add_f64 v[203:204], v[182:183], -v[176:177]
	v_add_f64 v[207:208], v[148:149], -v[152:153]
	v_fma_f64 v[205:206], v[193:194], s[18:19], v[205:206]
	v_add_f64 v[158:159], v[158:159], v[195:196]
	v_fma_f64 v[209:210], v[168:169], -0.5, v[130:131]
	v_add_f64 v[152:153], v[176:177], -v[152:153]
	v_add_f64 v[176:177], v[178:179], v[154:155]
	v_fma_f64 v[168:169], v[170:171], s[16:17], v[156:157]
	v_fma_f64 v[193:194], v[170:171], s[16:17], v[197:198]
	;; [unrolled: 1-line block ×3, first 2 shown]
	v_add_f64 v[170:171], v[203:204], v[207:208]
	v_fma_f64 v[199:200], v[199:200], s[20:21], v[205:206]
	v_add_f64 v[158:159], v[158:159], v[150:151]
	v_fma_f64 v[203:204], v[152:153], s[22:23], v[209:210]
	v_add_f64 v[148:149], v[182:183], -v[148:149]
	v_fma_f64 v[207:208], v[152:153], s[18:19], v[209:210]
	v_fma_f64 v[176:177], v[176:177], -0.5, v[130:131]
	v_add_f64 v[182:183], v[178:179], -v[195:196]
	v_add_f64 v[205:206], v[154:155], -v[150:151]
	v_fma_f64 v[197:198], v[170:171], s[16:17], v[156:157]
	v_fma_f64 v[201:202], v[170:171], s[16:17], v[199:200]
	v_add_f64 v[130:131], v[158:159], v[154:155]
	v_fma_f64 v[156:157], v[148:149], s[20:21], v[203:204]
	v_add_f64 v[158:159], v[134:135], v[172:173]
	v_fma_f64 v[199:200], v[148:149], s[4:5], v[207:208]
	v_fma_f64 v[203:204], v[148:149], s[18:19], v[176:177]
	v_add_f64 v[178:179], v[195:196], -v[178:179]
	v_add_f64 v[150:151], v[150:151], -v[154:155]
	v_fma_f64 v[148:149], v[148:149], s[22:23], v[176:177]
	v_add_f64 v[182:183], v[182:183], v[205:206]
	v_add_f64 v[176:177], v[188:189], -v[180:181]
	v_fma_f64 v[158:159], v[158:159], -0.5, v[124:125]
	v_add_f64 v[154:155], v[132:133], v[174:175]
	v_add_f64 v[205:206], v[174:175], -v[172:173]
	v_add_f64 v[207:208], v[184:185], v[186:187]
	v_add_f64 v[150:151], v[178:179], v[150:151]
	v_fma_f64 v[148:149], v[152:153], s[4:5], v[148:149]
	v_fma_f64 v[170:171], v[182:183], s[16:17], v[156:157]
	;; [unrolled: 1-line block ×4, first 2 shown]
	v_add_f64 v[178:179], v[184:185], -v[186:187]
	v_fma_f64 v[152:153], v[176:177], s[18:19], v[158:159]
	v_add_f64 v[182:183], v[132:133], -v[134:135]
	v_fma_f64 v[154:155], v[154:155], -0.5, v[124:125]
	v_fma_f64 v[203:204], v[150:151], s[16:17], v[148:149]
	v_add_f64 v[148:149], v[188:189], v[180:181]
	v_add_f64 v[209:210], v[134:135], -v[132:133]
	v_fma_f64 v[199:200], v[150:151], s[16:17], v[156:157]
	v_fma_f64 v[156:157], v[176:177], s[22:23], v[158:159]
	v_fma_f64 v[150:151], v[178:179], s[4:5], v[152:153]
	v_add_f64 v[152:153], v[182:183], v[205:206]
	v_fma_f64 v[182:183], v[207:208], -0.5, v[126:127]
	v_add_f64 v[205:206], v[132:133], -v[174:175]
	v_add_f64 v[207:208], v[134:135], -v[172:173]
	v_fma_f64 v[148:149], v[148:149], -0.5, v[126:127]
	v_fma_f64 v[158:159], v[178:179], s[22:23], v[154:155]
	v_fma_f64 v[156:157], v[178:179], s[20:21], v[156:157]
	v_add_f64 v[211:212], v[172:173], -v[174:175]
	v_fma_f64 v[154:155], v[178:179], s[18:19], v[154:155]
	v_add_f64 v[213:214], v[188:189], -v[184:185]
	;; [unrolled: 2-line block ×3, first 2 shown]
	v_fma_f64 v[182:183], v[205:206], s[18:19], v[182:183]
	v_fma_f64 v[217:218], v[207:208], s[18:19], v[148:149]
	v_add_f64 v[219:220], v[184:185], -v[188:189]
	v_add_f64 v[221:222], v[186:187], -v[180:181]
	v_fma_f64 v[148:149], v[207:208], s[22:23], v[148:149]
	v_fma_f64 v[158:159], v[176:177], s[4:5], v[158:159]
	v_add_f64 v[209:210], v[209:210], v[211:212]
	v_fma_f64 v[154:155], v[176:177], s[20:21], v[154:155]
	v_fma_f64 v[178:179], v[207:208], s[20:21], v[178:179]
	v_add_f64 v[211:212], v[213:214], v[215:216]
	;; [unrolled: 3-line block ×3, first 2 shown]
	v_fma_f64 v[205:206], v[205:206], s[4:5], v[148:149]
	v_fma_f64 v[176:177], v[152:153], s[16:17], v[150:151]
	;; [unrolled: 1-line block ×9, first 2 shown]
	s_movk_i32 s4, 0xa5
	v_mad_legacy_u16 v0, v0, s4, v2
	v_lshlrev_b32_e32 v250, 4, v0
	v_lshlrev_b32_e32 v0, 4, v192
	ds_write_b128 v249, v[136:139]
	ds_write_b128 v249, v[140:143] offset:528
	ds_write_b128 v249, v[160:163] offset:1056
	;; [unrolled: 1-line block ×4, first 2 shown]
	ds_write_b128 v250, v[128:131]
	ds_write_b128 v250, v[168:171] offset:528
	ds_write_b128 v250, v[197:200] offset:1056
	ds_write_b128 v250, v[201:204] offset:1584
	ds_write_b128 v250, v[193:196] offset:2112
	buffer_store_dword v0, off, s[40:43], 0 offset:84 ; 4-byte Folded Spill
	s_and_saveexec_b64 s[4:5], vcc
	s_cbranch_execz .LBB0_9
; %bb.8:
	buffer_load_dword v0, off, s[40:43], 0 offset:84 ; 4-byte Folded Reload
	v_add_f64 v[126:127], v[126:127], v[188:189]
	v_add_f64 v[124:125], v[124:125], v[132:133]
	v_add_f64 v[126:127], v[126:127], v[184:185]
	v_add_f64 v[124:125], v[124:125], v[134:135]
	v_add_f64 v[126:127], v[126:127], v[186:187]
	v_add_f64 v[124:125], v[124:125], v[172:173]
	v_add_f64 v[126:127], v[126:127], v[180:181]
	v_add_f64 v[124:125], v[124:125], v[174:175]
	s_waitcnt vmcnt(0)
	ds_write_b128 v0, v[176:179] offset:26928
	ds_write_b128 v0, v[148:151] offset:27456
	;; [unrolled: 1-line block ×5, first 2 shown]
.LBB0_9:
	s_or_b64 exec, exec, s[4:5]
	v_mov_b32_e32 v0, s13
	v_addc_co_u32_e64 v252, s[2:3], 0, v0, s[2:3]
	v_mov_b32_e32 v129, s15
	s_movk_i32 s2, 0xa0
	v_mov_b32_e32 v128, s14
	v_mad_u64_u32 v[229:230], s[2:3], v248, s2, v[128:129]
	s_waitcnt vmcnt(0) lgkmcnt(0)
	s_barrier
	ds_read_b128 v[184:187], v247
	ds_read_b128 v[124:127], v247 offset:2640
	ds_read_b128 v[132:135], v247 offset:5280
	;; [unrolled: 1-line block ×10, first 2 shown]
	global_load_dwordx4 v[128:131], v[229:230], off offset:2512
	global_load_dwordx4 v[136:139], v[229:230], off offset:2496
	global_load_dwordx4 v[144:147], v[229:230], off offset:2480
	global_load_dwordx4 v[160:163], v[229:230], off offset:2464
	s_mov_b32 s18, 0xf8bb580b
	s_mov_b32 s19, 0xbfe14ced
	;; [unrolled: 1-line block ×26, first 2 shown]
	s_movk_i32 s2, 0x7170
	s_waitcnt vmcnt(0) lgkmcnt(9)
	v_mul_f64 v[168:169], v[126:127], v[162:163]
	v_fma_f64 v[231:232], v[124:125], v[160:161], -v[168:169]
	v_mul_f64 v[124:125], v[124:125], v[162:163]
	v_fma_f64 v[233:234], v[126:127], v[160:161], v[124:125]
	s_waitcnt lgkmcnt(8)
	v_mul_f64 v[124:125], v[134:135], v[146:147]
	v_fma_f64 v[212:213], v[132:133], v[144:145], -v[124:125]
	v_mul_f64 v[124:125], v[132:133], v[146:147]
	v_fma_f64 v[214:215], v[134:135], v[144:145], v[124:125]
	s_waitcnt lgkmcnt(7)
	;; [unrolled: 5-line block ×3, first 2 shown]
	v_mul_f64 v[124:125], v[166:167], v[130:131]
	v_fma_f64 v[198:199], v[164:165], v[128:129], -v[124:125]
	v_mul_f64 v[124:125], v[164:165], v[130:131]
	v_fma_f64 v[196:197], v[166:167], v[128:129], v[124:125]
	global_load_dwordx4 v[124:127], v[229:230], off offset:2576
	global_load_dwordx4 v[132:135], v[229:230], off offset:2560
	;; [unrolled: 1-line block ×4, first 2 shown]
	s_waitcnt vmcnt(0) lgkmcnt(5)
	v_mul_f64 v[164:165], v[174:175], v[170:171]
	v_fma_f64 v[192:193], v[172:173], v[168:169], -v[164:165]
	v_mul_f64 v[164:165], v[172:173], v[170:171]
	v_fma_f64 v[188:189], v[174:175], v[168:169], v[164:165]
	s_waitcnt lgkmcnt(4)
	v_mul_f64 v[164:165], v[182:183], v[142:143]
	v_fma_f64 v[194:195], v[180:181], v[140:141], -v[164:165]
	v_mul_f64 v[164:165], v[180:181], v[142:143]
	v_fma_f64 v[190:191], v[182:183], v[140:141], v[164:165]
	s_waitcnt lgkmcnt(3)
	v_mul_f64 v[164:165], v[210:211], v[134:135]
	v_add_f64 v[182:183], v[186:187], v[233:234]
	v_fma_f64 v[202:203], v[208:209], v[132:133], -v[164:165]
	v_mul_f64 v[164:165], v[208:209], v[134:135]
	v_add_f64 v[182:183], v[182:183], v[214:215]
	v_fma_f64 v[200:201], v[210:211], v[132:133], v[164:165]
	s_waitcnt lgkmcnt(2)
	v_mul_f64 v[164:165], v[218:219], v[126:127]
	v_add_f64 v[182:183], v[182:183], v[204:205]
	v_fma_f64 v[210:211], v[216:217], v[124:125], -v[164:165]
	v_mul_f64 v[164:165], v[216:217], v[126:127]
	v_add_f64 v[182:183], v[182:183], v[196:197]
	v_fma_f64 v[208:209], v[218:219], v[124:125], v[164:165]
	global_load_dwordx4 v[164:167], v[229:230], off offset:2608
	global_load_dwordx4 v[172:175], v[229:230], off offset:2592
	v_add_f64 v[182:183], v[182:183], v[188:189]
	v_add_f64 v[182:183], v[182:183], v[190:191]
	;; [unrolled: 1-line block ×4, first 2 shown]
	s_waitcnt vmcnt(0) lgkmcnt(1)
	v_mul_f64 v[180:181], v[222:223], v[174:175]
	v_fma_f64 v[241:242], v[220:221], v[172:173], -v[180:181]
	v_mul_f64 v[180:181], v[220:221], v[174:175]
	v_fma_f64 v[243:244], v[222:223], v[172:173], v[180:181]
	s_waitcnt lgkmcnt(0)
	v_mul_f64 v[180:181], v[227:228], v[166:167]
	v_add_f64 v[182:183], v[182:183], v[243:244]
	v_fma_f64 v[216:217], v[225:226], v[164:165], -v[180:181]
	v_mul_f64 v[180:181], v[225:226], v[166:167]
	v_add_f64 v[253:254], v[231:232], v[216:217]
	v_fma_f64 v[218:219], v[227:228], v[164:165], v[180:181]
	v_add_f64 v[180:181], v[184:185], v[231:232]
	v_add_f64 v[2:3], v[231:232], -v[216:217]
	v_add_f64 v[229:230], v[233:234], -v[218:219]
	v_add_f64 v[180:181], v[180:181], v[212:213]
	v_add_f64 v[182:183], v[182:183], v[218:219]
	;; [unrolled: 1-line block ×3, first 2 shown]
	v_mul_f64 v[6:7], v[2:3], s[18:19]
	v_mul_f64 v[14:15], v[2:3], s[14:15]
	v_mul_f64 v[220:221], v[2:3], s[22:23]
	v_add_f64 v[180:181], v[180:181], v[206:207]
	v_add_f64 v[180:181], v[180:181], v[198:199]
	;; [unrolled: 1-line block ×8, first 2 shown]
	v_mul_f64 v[216:217], v[229:230], s[18:19]
	v_fma_f64 v[218:219], v[253:254], s[20:21], -v[216:217]
	v_fma_f64 v[10:11], v[253:254], s[20:21], v[216:217]
	v_mul_f64 v[216:217], v[229:230], s[14:15]
	v_add_f64 v[4:5], v[184:185], v[218:219]
	v_fma_f64 v[218:219], v[0:1], s[20:21], v[6:7]
	v_fma_f64 v[6:7], v[0:1], s[20:21], -v[6:7]
	v_add_f64 v[10:11], v[184:185], v[10:11]
	v_add_f64 v[8:9], v[186:187], v[218:219]
	v_fma_f64 v[218:219], v[253:254], s[16:17], -v[216:217]
	v_fma_f64 v[216:217], v[253:254], s[16:17], v[216:217]
	v_add_f64 v[6:7], v[186:187], v[6:7]
	v_add_f64 v[12:13], v[184:185], v[218:219]
	v_fma_f64 v[218:219], v[0:1], s[16:17], v[14:15]
	v_fma_f64 v[14:15], v[0:1], s[16:17], -v[14:15]
	v_add_f64 v[225:226], v[184:185], v[216:217]
	v_add_f64 v[222:223], v[186:187], v[218:219]
	;; [unrolled: 1-line block ×3, first 2 shown]
	v_mul_f64 v[14:15], v[229:230], s[4:5]
	v_fma_f64 v[216:217], v[253:254], s[12:13], -v[14:15]
	v_fma_f64 v[14:15], v[253:254], s[12:13], v[14:15]
	v_add_f64 v[239:240], v[184:185], v[216:217]
	v_mul_f64 v[216:217], v[2:3], s[4:5]
	v_add_f64 v[235:236], v[184:185], v[14:15]
	v_mul_f64 v[2:3], v[2:3], s[26:27]
	v_fma_f64 v[14:15], v[0:1], s[12:13], -v[216:217]
	v_fma_f64 v[218:219], v[0:1], s[12:13], v[216:217]
	v_fma_f64 v[231:232], v[0:1], s[28:29], v[2:3]
	v_add_f64 v[237:238], v[186:187], v[14:15]
	v_mul_f64 v[14:15], v[229:230], s[22:23]
	v_add_f64 v[233:234], v[186:187], v[218:219]
	v_add_f64 v[231:232], v[186:187], v[231:232]
	v_fma_f64 v[216:217], v[253:254], s[24:25], -v[14:15]
	v_fma_f64 v[14:15], v[253:254], s[24:25], v[14:15]
	v_add_f64 v[245:246], v[184:185], v[216:217]
	v_add_f64 v[218:219], v[184:185], v[14:15]
	v_fma_f64 v[14:15], v[0:1], s[24:25], -v[220:221]
	v_fma_f64 v[216:217], v[0:1], s[24:25], v[220:221]
	v_fma_f64 v[0:1], v[0:1], s[28:29], -v[2:3]
	v_add_f64 v[2:3], v[214:215], v[243:244]
	v_add_f64 v[220:221], v[186:187], v[14:15]
	v_mul_f64 v[14:15], v[229:230], s[26:27]
	v_add_f64 v[216:217], v[186:187], v[216:217]
	v_add_f64 v[186:187], v[186:187], v[0:1]
	;; [unrolled: 1-line block ×3, first 2 shown]
	v_fma_f64 v[229:230], v[253:254], s[28:29], -v[14:15]
	v_fma_f64 v[14:15], v[253:254], s[28:29], v[14:15]
	v_add_f64 v[229:230], v[184:185], v[229:230]
	v_add_f64 v[184:185], v[184:185], v[14:15]
	v_add_f64 v[14:15], v[212:213], -v[241:242]
	v_add_f64 v[212:213], v[214:215], -v[243:244]
	v_mul_f64 v[214:215], v[212:213], s[14:15]
	v_fma_f64 v[241:242], v[0:1], s[16:17], -v[214:215]
	v_fma_f64 v[214:215], v[0:1], s[16:17], v[214:215]
	v_add_f64 v[4:5], v[241:242], v[4:5]
	v_mul_f64 v[241:242], v[14:15], s[14:15]
	v_add_f64 v[10:11], v[214:215], v[10:11]
	v_fma_f64 v[214:215], v[2:3], s[16:17], -v[241:242]
	v_fma_f64 v[243:244], v[2:3], s[16:17], v[241:242]
	v_add_f64 v[6:7], v[214:215], v[6:7]
	v_mul_f64 v[214:215], v[212:213], s[22:23]
	v_add_f64 v[8:9], v[243:244], v[8:9]
	;; [unrolled: 5-line block ×6, first 2 shown]
	v_mul_f64 v[243:244], v[14:15], s[30:31]
	v_mul_f64 v[212:213], v[212:213], s[36:37]
	;; [unrolled: 1-line block ×3, first 2 shown]
	v_fma_f64 v[241:242], v[0:1], s[12:13], -v[237:238]
	v_fma_f64 v[237:238], v[0:1], s[12:13], v[237:238]
	v_add_f64 v[241:242], v[241:242], v[245:246]
	v_add_f64 v[218:219], v[237:238], v[218:219]
	v_fma_f64 v[237:238], v[2:3], s[12:13], -v[243:244]
	v_fma_f64 v[245:246], v[2:3], s[12:13], v[243:244]
	v_add_f64 v[220:221], v[237:238], v[220:221]
	v_fma_f64 v[237:238], v[0:1], s[20:21], -v[212:213]
	v_fma_f64 v[0:1], v[0:1], s[20:21], v[212:213]
	v_add_f64 v[216:217], v[245:246], v[216:217]
	v_add_f64 v[229:230], v[237:238], v[229:230]
	v_fma_f64 v[237:238], v[2:3], s[20:21], v[14:15]
	v_add_f64 v[0:1], v[0:1], v[184:185]
	v_fma_f64 v[2:3], v[2:3], s[20:21], -v[14:15]
	v_add_f64 v[184:185], v[204:205], v[208:209]
	v_add_f64 v[204:205], v[204:205], -v[208:209]
	v_add_f64 v[14:15], v[206:207], v[210:211]
	v_add_f64 v[231:232], v[237:238], v[231:232]
	;; [unrolled: 1-line block ×3, first 2 shown]
	v_add_f64 v[186:187], v[206:207], -v[210:211]
	v_mul_f64 v[206:207], v[204:205], s[4:5]
	v_mul_f64 v[212:213], v[204:205], s[38:39]
	v_fma_f64 v[208:209], v[14:15], s[12:13], -v[206:207]
	v_fma_f64 v[206:207], v[14:15], s[12:13], v[206:207]
	v_add_f64 v[4:5], v[208:209], v[4:5]
	v_mul_f64 v[208:209], v[186:187], s[4:5]
	v_add_f64 v[10:11], v[206:207], v[10:11]
	v_fma_f64 v[206:207], v[184:185], s[12:13], -v[208:209]
	v_fma_f64 v[210:211], v[184:185], s[12:13], v[208:209]
	v_add_f64 v[6:7], v[206:207], v[6:7]
	v_mul_f64 v[206:207], v[204:205], s[34:35]
	v_add_f64 v[8:9], v[210:211], v[8:9]
	;; [unrolled: 5-line block ×3, first 2 shown]
	v_fma_f64 v[214:215], v[14:15], s[16:17], -v[212:213]
	v_fma_f64 v[212:213], v[14:15], s[16:17], v[212:213]
	v_fma_f64 v[210:211], v[184:185], s[28:29], v[208:209]
	v_fma_f64 v[208:209], v[184:185], s[28:29], -v[208:209]
	v_add_f64 v[214:215], v[214:215], v[239:240]
	v_add_f64 v[212:213], v[212:213], v[227:228]
	v_mul_f64 v[227:228], v[204:205], s[18:19]
	v_mul_f64 v[204:205], v[204:205], s[22:23]
	v_add_f64 v[210:211], v[210:211], v[222:223]
	v_mul_f64 v[222:223], v[186:187], s[38:39]
	v_add_f64 v[208:209], v[208:209], v[225:226]
	v_fma_f64 v[225:226], v[184:185], s[16:17], v[222:223]
	v_fma_f64 v[222:223], v[184:185], s[16:17], -v[222:223]
	v_add_f64 v[225:226], v[225:226], v[233:234]
	v_add_f64 v[222:223], v[222:223], v[235:236]
	v_fma_f64 v[233:234], v[14:15], s[20:21], -v[227:228]
	v_mul_f64 v[235:236], v[186:187], s[18:19]
	v_fma_f64 v[227:228], v[14:15], s[20:21], v[227:228]
	v_mul_f64 v[186:187], v[186:187], s[22:23]
	v_add_f64 v[233:234], v[233:234], v[241:242]
	v_fma_f64 v[237:238], v[184:185], s[20:21], v[235:236]
	v_add_f64 v[218:219], v[227:228], v[218:219]
	v_fma_f64 v[227:228], v[184:185], s[20:21], -v[235:236]
	v_add_f64 v[216:217], v[237:238], v[216:217]
	v_add_f64 v[220:221], v[227:228], v[220:221]
	v_fma_f64 v[227:228], v[14:15], s[24:25], -v[204:205]
	v_fma_f64 v[14:15], v[14:15], s[24:25], v[204:205]
	v_add_f64 v[227:228], v[227:228], v[229:230]
	v_fma_f64 v[229:230], v[184:185], s[24:25], v[186:187]
	v_add_f64 v[0:1], v[14:15], v[0:1]
	v_fma_f64 v[14:15], v[184:185], s[24:25], -v[186:187]
	v_add_f64 v[184:185], v[196:197], v[200:201]
	v_add_f64 v[196:197], v[196:197], -v[200:201]
	v_add_f64 v[186:187], v[198:199], -v[202:203]
	v_add_f64 v[229:230], v[229:230], v[231:232]
	v_add_f64 v[2:3], v[14:15], v[2:3]
	;; [unrolled: 1-line block ×3, first 2 shown]
	v_mul_f64 v[198:199], v[196:197], s[22:23]
	v_mul_f64 v[204:205], v[196:197], s[18:19]
	v_fma_f64 v[200:201], v[14:15], s[24:25], -v[198:199]
	v_fma_f64 v[198:199], v[14:15], s[24:25], v[198:199]
	v_add_f64 v[4:5], v[200:201], v[4:5]
	v_mul_f64 v[200:201], v[186:187], s[22:23]
	v_add_f64 v[10:11], v[198:199], v[10:11]
	v_fma_f64 v[198:199], v[184:185], s[24:25], -v[200:201]
	v_fma_f64 v[202:203], v[184:185], s[24:25], v[200:201]
	v_add_f64 v[6:7], v[198:199], v[6:7]
	v_mul_f64 v[198:199], v[196:197], s[30:31]
	v_add_f64 v[8:9], v[202:203], v[8:9]
	;; [unrolled: 5-line block ×3, first 2 shown]
	v_fma_f64 v[206:207], v[14:15], s[20:21], -v[204:205]
	v_fma_f64 v[204:205], v[14:15], s[20:21], v[204:205]
	v_fma_f64 v[202:203], v[184:185], s[12:13], v[200:201]
	v_fma_f64 v[200:201], v[184:185], s[12:13], -v[200:201]
	v_add_f64 v[206:207], v[206:207], v[214:215]
	v_add_f64 v[204:205], v[204:205], v[212:213]
	v_mul_f64 v[212:213], v[196:197], s[26:27]
	v_mul_f64 v[196:197], v[196:197], s[38:39]
	v_add_f64 v[202:203], v[202:203], v[210:211]
	v_add_f64 v[200:201], v[200:201], v[208:209]
	v_mul_f64 v[208:209], v[186:187], s[18:19]
	v_fma_f64 v[214:215], v[14:15], s[28:29], -v[212:213]
	v_fma_f64 v[212:213], v[14:15], s[28:29], v[212:213]
	v_fma_f64 v[210:211], v[184:185], s[20:21], v[208:209]
	v_fma_f64 v[208:209], v[184:185], s[20:21], -v[208:209]
	v_add_f64 v[214:215], v[214:215], v[233:234]
	v_add_f64 v[212:213], v[212:213], v[218:219]
	;; [unrolled: 1-line block ×4, first 2 shown]
	v_mul_f64 v[222:223], v[186:187], s[26:27]
	v_mul_f64 v[186:187], v[186:187], s[38:39]
	v_fma_f64 v[218:219], v[184:185], s[28:29], -v[222:223]
	v_fma_f64 v[225:226], v[184:185], s[28:29], v[222:223]
	v_fma_f64 v[222:223], v[184:185], s[16:17], v[186:187]
	v_add_f64 v[218:219], v[218:219], v[220:221]
	v_fma_f64 v[220:221], v[14:15], s[16:17], -v[196:197]
	v_fma_f64 v[14:15], v[14:15], s[16:17], v[196:197]
	v_add_f64 v[222:223], v[222:223], v[229:230]
	v_add_f64 v[229:230], v[188:189], -v[190:191]
	v_add_f64 v[216:217], v[225:226], v[216:217]
	v_add_f64 v[225:226], v[188:189], v[190:191]
	;; [unrolled: 1-line block ×4, first 2 shown]
	v_fma_f64 v[14:15], v[184:185], s[16:17], -v[186:187]
	v_mul_f64 v[188:189], v[229:230], s[26:27]
	v_add_f64 v[227:228], v[192:193], -v[194:195]
	v_add_f64 v[2:3], v[14:15], v[2:3]
	v_add_f64 v[14:15], v[192:193], v[194:195]
	v_fma_f64 v[184:185], v[14:15], s[28:29], -v[188:189]
	v_add_f64 v[184:185], v[184:185], v[4:5]
	v_mul_f64 v[4:5], v[227:228], s[26:27]
	v_fma_f64 v[186:187], v[225:226], s[28:29], v[4:5]
	v_fma_f64 v[4:5], v[225:226], s[28:29], -v[4:5]
	v_add_f64 v[186:187], v[186:187], v[8:9]
	v_add_f64 v[190:191], v[4:5], v[6:7]
	v_mul_f64 v[4:5], v[229:230], s[36:37]
	v_fma_f64 v[8:9], v[14:15], s[28:29], v[188:189]
	v_fma_f64 v[6:7], v[14:15], s[20:21], -v[4:5]
	v_fma_f64 v[4:5], v[14:15], s[20:21], v[4:5]
	v_add_f64 v[188:189], v[8:9], v[10:11]
	v_add_f64 v[192:193], v[6:7], v[12:13]
	v_mul_f64 v[6:7], v[227:228], s[36:37]
	v_add_f64 v[196:197], v[4:5], v[198:199]
	v_fma_f64 v[4:5], v[225:226], s[20:21], -v[6:7]
	v_fma_f64 v[8:9], v[225:226], s[20:21], v[6:7]
	v_add_f64 v[198:199], v[4:5], v[200:201]
	v_mul_f64 v[4:5], v[229:230], s[22:23]
	v_add_f64 v[194:195], v[8:9], v[202:203]
	v_fma_f64 v[6:7], v[14:15], s[24:25], -v[4:5]
	v_fma_f64 v[4:5], v[14:15], s[24:25], v[4:5]
	;; [unrolled: 5-line block ×6, first 2 shown]
	v_add_f64 v[216:217], v[6:7], v[220:221]
	v_mul_f64 v[6:7], v[227:228], s[4:5]
	v_add_f64 v[220:221], v[4:5], v[0:1]
	v_fma_f64 v[8:9], v[225:226], s[12:13], v[6:7]
	v_fma_f64 v[0:1], v[225:226], s[12:13], -v[6:7]
	v_add_f64 v[218:219], v[8:9], v[222:223]
	v_add_f64 v[222:223], v[0:1], v[2:3]
	v_add_co_u32_e64 v0, s[2:3], s2, v255
	v_addc_co_u32_e64 v1, s[2:3], 0, v252, s[2:3]
	s_movk_i32 s2, 0x7000
	v_add_co_u32_e64 v2, s[2:3], s2, v255
	v_addc_co_u32_e64 v3, s[2:3], 0, v252, s[2:3]
	ds_write_b128 v247, v[180:183]
	ds_write_b128 v247, v[184:187] offset:2640
	ds_write_b128 v247, v[192:195] offset:5280
	;; [unrolled: 1-line block ×10, first 2 shown]
	s_waitcnt lgkmcnt(0)
	s_barrier
	global_load_dwordx4 v[184:187], v[2:3], off offset:368
	ds_read_b128 v[180:183], v247
	s_mov_b32 s2, 0x8000
	s_waitcnt vmcnt(0) lgkmcnt(0)
	v_mul_f64 v[2:3], v[182:183], v[186:187]
	v_fma_f64 v[188:189], v[180:181], v[184:185], -v[2:3]
	v_mul_f64 v[2:3], v[180:181], v[186:187]
	v_fma_f64 v[190:191], v[182:183], v[184:185], v[2:3]
	global_load_dwordx4 v[184:187], v[0:1], off offset:2640
	ds_read_b128 v[180:183], v247 offset:2640
	ds_write_b128 v247, v[188:191]
	s_waitcnt vmcnt(0) lgkmcnt(1)
	v_mul_f64 v[0:1], v[182:183], v[186:187]
	v_fma_f64 v[188:189], v[180:181], v[184:185], -v[0:1]
	v_mul_f64 v[0:1], v[180:181], v[186:187]
	v_fma_f64 v[190:191], v[182:183], v[184:185], v[0:1]
	v_add_co_u32_e64 v0, s[2:3], s2, v255
	v_addc_co_u32_e64 v1, s[2:3], 0, v252, s[2:3]
	global_load_dwordx4 v[184:187], v[0:1], off offset:1552
	ds_read_b128 v[180:183], v247 offset:5280
	s_mov_b32 s2, 0x9000
	ds_write_b128 v247, v[188:191] offset:2640
	s_waitcnt vmcnt(0) lgkmcnt(1)
	v_mul_f64 v[0:1], v[182:183], v[186:187]
	v_fma_f64 v[188:189], v[180:181], v[184:185], -v[0:1]
	v_mul_f64 v[0:1], v[180:181], v[186:187]
	v_fma_f64 v[190:191], v[182:183], v[184:185], v[0:1]
	v_add_co_u32_e64 v0, s[2:3], s2, v255
	v_addc_co_u32_e64 v1, s[2:3], 0, v252, s[2:3]
	global_load_dwordx4 v[184:187], v[0:1], off offset:96
	ds_read_b128 v[180:183], v247 offset:7920
	s_mov_b32 s2, 0xa000
	ds_write_b128 v247, v[188:191] offset:5280
	s_waitcnt vmcnt(0) lgkmcnt(1)
	v_mul_f64 v[2:3], v[182:183], v[186:187]
	v_fma_f64 v[188:189], v[180:181], v[184:185], -v[2:3]
	v_mul_f64 v[2:3], v[180:181], v[186:187]
	v_fma_f64 v[190:191], v[182:183], v[184:185], v[2:3]
	global_load_dwordx4 v[184:187], v[0:1], off offset:2736
	ds_read_b128 v[180:183], v247 offset:10560
	ds_write_b128 v247, v[188:191] offset:7920
	s_waitcnt vmcnt(0) lgkmcnt(1)
	v_mul_f64 v[0:1], v[182:183], v[186:187]
	v_fma_f64 v[188:189], v[180:181], v[184:185], -v[0:1]
	v_mul_f64 v[0:1], v[180:181], v[186:187]
	v_fma_f64 v[190:191], v[182:183], v[184:185], v[0:1]
	v_add_co_u32_e64 v0, s[2:3], s2, v255
	v_addc_co_u32_e64 v1, s[2:3], 0, v252, s[2:3]
	global_load_dwordx4 v[184:187], v[0:1], off offset:1280
	ds_read_b128 v[180:183], v247 offset:13200
	s_mov_b32 s2, 0xb000
	ds_write_b128 v247, v[188:191] offset:10560
	s_waitcnt vmcnt(0) lgkmcnt(1)
	v_mul_f64 v[2:3], v[182:183], v[186:187]
	v_fma_f64 v[188:189], v[180:181], v[184:185], -v[2:3]
	v_mul_f64 v[2:3], v[180:181], v[186:187]
	v_fma_f64 v[190:191], v[182:183], v[184:185], v[2:3]
	global_load_dwordx4 v[184:187], v[0:1], off offset:3920
	ds_read_b128 v[180:183], v247 offset:15840
	ds_write_b128 v247, v[188:191] offset:13200
	s_waitcnt vmcnt(0) lgkmcnt(1)
	v_mul_f64 v[0:1], v[182:183], v[186:187]
	v_fma_f64 v[188:189], v[180:181], v[184:185], -v[0:1]
	v_mul_f64 v[0:1], v[180:181], v[186:187]
	v_fma_f64 v[190:191], v[182:183], v[184:185], v[0:1]
	v_add_co_u32_e64 v0, s[2:3], s2, v255
	v_addc_co_u32_e64 v1, s[2:3], 0, v252, s[2:3]
	global_load_dwordx4 v[184:187], v[0:1], off offset:2464
	ds_read_b128 v[180:183], v247 offset:18480
	s_mov_b32 s2, 0xc000
	ds_write_b128 v247, v[188:191] offset:15840
	s_waitcnt vmcnt(0) lgkmcnt(1)
	v_mul_f64 v[0:1], v[182:183], v[186:187]
	v_fma_f64 v[188:189], v[180:181], v[184:185], -v[0:1]
	v_mul_f64 v[0:1], v[180:181], v[186:187]
	v_fma_f64 v[190:191], v[182:183], v[184:185], v[0:1]
	v_add_co_u32_e64 v0, s[2:3], s2, v255
	v_addc_co_u32_e64 v1, s[2:3], 0, v252, s[2:3]
	global_load_dwordx4 v[184:187], v[0:1], off offset:1008
	ds_read_b128 v[180:183], v247 offset:21120
	s_mov_b32 s2, 0xd000
	ds_write_b128 v247, v[188:191] offset:18480
	s_waitcnt vmcnt(0) lgkmcnt(1)
	v_mul_f64 v[2:3], v[182:183], v[186:187]
	v_fma_f64 v[188:189], v[180:181], v[184:185], -v[2:3]
	v_mul_f64 v[2:3], v[180:181], v[186:187]
	v_fma_f64 v[190:191], v[182:183], v[184:185], v[2:3]
	global_load_dwordx4 v[184:187], v[0:1], off offset:3648
	ds_read_b128 v[180:183], v247 offset:23760
	ds_write_b128 v247, v[188:191] offset:21120
	s_waitcnt vmcnt(0) lgkmcnt(1)
	v_mul_f64 v[0:1], v[182:183], v[186:187]
	v_fma_f64 v[188:189], v[180:181], v[184:185], -v[0:1]
	v_mul_f64 v[0:1], v[180:181], v[186:187]
	v_fma_f64 v[190:191], v[182:183], v[184:185], v[0:1]
	v_add_co_u32_e64 v0, s[2:3], s2, v255
	v_addc_co_u32_e64 v1, s[2:3], 0, v252, s[2:3]
	global_load_dwordx4 v[184:187], v[0:1], off offset:2192
	ds_read_b128 v[180:183], v247 offset:26400
	s_mov_b32 s3, 0x3fe82f19
	ds_write_b128 v247, v[188:191] offset:23760
	s_mov_b32 s2, s22
	s_waitcnt vmcnt(0) lgkmcnt(1)
	v_mul_f64 v[0:1], v[182:183], v[186:187]
	v_fma_f64 v[188:189], v[180:181], v[184:185], -v[0:1]
	v_mul_f64 v[0:1], v[180:181], v[186:187]
	v_fma_f64 v[190:191], v[182:183], v[184:185], v[0:1]
	ds_write_b128 v247, v[188:191] offset:26400
	s_waitcnt lgkmcnt(0)
	s_barrier
	ds_read_b128 v[208:211], v247
	ds_read_b128 v[212:215], v247 offset:2640
	ds_read_b128 v[216:219], v247 offset:5280
	;; [unrolled: 1-line block ×10, first 2 shown]
	s_waitcnt lgkmcnt(9)
	v_add_f64 v[2:3], v[210:211], v[214:215]
	v_add_f64 v[0:1], v[208:209], v[212:213]
	s_waitcnt lgkmcnt(0)
	s_barrier
	v_add_f64 v[4:5], v[212:213], -v[225:226]
	v_add_f64 v[6:7], v[214:215], -v[227:228]
	v_add_f64 v[2:3], v[2:3], v[218:219]
	v_add_f64 v[0:1], v[0:1], v[216:217]
	v_mul_f64 v[8:9], v[6:7], s[18:19]
	v_mul_f64 v[229:230], v[6:7], s[4:5]
	;; [unrolled: 1-line block ×3, first 2 shown]
	v_add_f64 v[2:3], v[2:3], v[202:203]
	v_add_f64 v[0:1], v[0:1], v[200:201]
	;; [unrolled: 1-line block ×18, first 2 shown]
	v_mul_f64 v[212:213], v[6:7], s[14:15]
	v_mul_f64 v[6:7], v[6:7], s[26:27]
	;; [unrolled: 1-line block ×7, first 2 shown]
	v_fma_f64 v[10:11], v[0:1], s[20:21], v[8:9]
	v_fma_f64 v[8:9], v[0:1], s[20:21], -v[8:9]
	v_fma_f64 v[214:215], v[0:1], s[16:17], v[212:213]
	v_fma_f64 v[14:15], v[4:5], s[36:37], v[12:13]
	;; [unrolled: 1-line block ×11, first 2 shown]
	v_add_f64 v[14:15], v[210:211], v[14:15]
	v_add_f64 v[12:13], v[210:211], v[12:13]
	;; [unrolled: 1-line block ×3, first 2 shown]
	v_fma_f64 v[212:213], v[0:1], s[16:17], -v[212:213]
	v_add_f64 v[225:226], v[210:211], v[225:226]
	v_fma_f64 v[231:232], v[0:1], s[12:13], v[229:230]
	v_add_f64 v[235:236], v[210:211], v[235:236]
	v_fma_f64 v[229:230], v[0:1], s[12:13], -v[229:230]
	v_add_f64 v[233:234], v[210:211], v[233:234]
	v_fma_f64 v[239:240], v[0:1], s[24:25], v[237:238]
	v_add_f64 v[243:244], v[210:211], v[243:244]
	;; [unrolled: 4-line block ×3, first 2 shown]
	v_fma_f64 v[0:1], v[0:1], s[28:29], -v[6:7]
	v_add_f64 v[2:3], v[210:211], v[2:3]
	v_add_f64 v[210:211], v[218:219], -v[222:223]
	v_add_f64 v[10:11], v[208:209], v[10:11]
	v_add_f64 v[8:9], v[208:209], v[8:9]
	;; [unrolled: 1-line block ×11, first 2 shown]
	v_add_f64 v[208:209], v[216:217], -v[220:221]
	v_mul_f64 v[216:217], v[210:211], s[14:15]
	v_add_f64 v[6:7], v[218:219], v[222:223]
	v_fma_f64 v[218:219], v[4:5], s[16:17], v[216:217]
	v_fma_f64 v[216:217], v[4:5], s[16:17], -v[216:217]
	v_add_f64 v[10:11], v[218:219], v[10:11]
	v_mul_f64 v[218:219], v[6:7], s[16:17]
	v_add_f64 v[8:9], v[216:217], v[8:9]
	v_fma_f64 v[216:217], v[208:209], s[14:15], v[218:219]
	v_fma_f64 v[220:221], v[208:209], s[38:39], v[218:219]
	v_add_f64 v[12:13], v[216:217], v[12:13]
	v_mul_f64 v[216:217], v[210:211], s[22:23]
	v_add_f64 v[14:15], v[220:221], v[14:15]
	v_fma_f64 v[218:219], v[4:5], s[24:25], v[216:217]
	v_fma_f64 v[216:217], v[4:5], s[24:25], -v[216:217]
	v_add_f64 v[214:215], v[218:219], v[214:215]
	v_mul_f64 v[218:219], v[6:7], s[24:25]
	v_add_f64 v[212:213], v[216:217], v[212:213]
	v_fma_f64 v[220:221], v[208:209], s[2:3], v[218:219]
	v_fma_f64 v[216:217], v[208:209], s[22:23], v[218:219]
	v_mul_f64 v[218:219], v[210:211], s[34:35]
	v_add_f64 v[220:221], v[220:221], v[227:228]
	v_add_f64 v[216:217], v[216:217], v[225:226]
	v_fma_f64 v[222:223], v[4:5], s[28:29], v[218:219]
	v_fma_f64 v[218:219], v[4:5], s[28:29], -v[218:219]
	v_mul_f64 v[225:226], v[6:7], s[28:29]
	v_add_f64 v[222:223], v[222:223], v[231:232]
	v_add_f64 v[218:219], v[218:219], v[229:230]
	v_mul_f64 v[229:230], v[210:211], s[30:31]
	v_fma_f64 v[227:228], v[208:209], s[26:27], v[225:226]
	v_fma_f64 v[225:226], v[208:209], s[34:35], v[225:226]
	v_mul_f64 v[210:211], v[210:211], s[36:37]
	v_fma_f64 v[231:232], v[4:5], s[12:13], v[229:230]
	v_fma_f64 v[229:230], v[4:5], s[12:13], -v[229:230]
	v_add_f64 v[225:226], v[225:226], v[233:234]
	v_mul_f64 v[233:234], v[6:7], s[12:13]
	v_mul_f64 v[6:7], v[6:7], s[20:21]
	v_add_f64 v[227:228], v[227:228], v[235:236]
	v_add_f64 v[231:232], v[231:232], v[239:240]
	;; [unrolled: 1-line block ×3, first 2 shown]
	v_fma_f64 v[237:238], v[4:5], s[20:21], v[210:211]
	v_fma_f64 v[4:5], v[4:5], s[20:21], -v[210:211]
	v_fma_f64 v[239:240], v[208:209], s[18:19], v[6:7]
	v_fma_f64 v[235:236], v[208:209], s[4:5], v[233:234]
	;; [unrolled: 1-line block ×3, first 2 shown]
	v_add_f64 v[237:238], v[237:238], v[245:246]
	v_add_f64 v[0:1], v[4:5], v[0:1]
	v_fma_f64 v[4:5], v[208:209], s[36:37], v[6:7]
	v_add_f64 v[6:7], v[202:203], v[206:207]
	v_add_f64 v[202:203], v[202:203], -v[206:207]
	v_add_f64 v[233:234], v[233:234], v[241:242]
	v_add_f64 v[235:236], v[235:236], v[243:244]
	;; [unrolled: 1-line block ×5, first 2 shown]
	v_add_f64 v[200:201], v[200:201], -v[204:205]
	v_mul_f64 v[204:205], v[202:203], s[4:5]
	v_fma_f64 v[206:207], v[4:5], s[12:13], v[204:205]
	v_fma_f64 v[204:205], v[4:5], s[12:13], -v[204:205]
	v_add_f64 v[10:11], v[206:207], v[10:11]
	v_mul_f64 v[206:207], v[6:7], s[12:13]
	v_add_f64 v[8:9], v[204:205], v[8:9]
	v_fma_f64 v[204:205], v[200:201], s[4:5], v[206:207]
	v_fma_f64 v[208:209], v[200:201], s[30:31], v[206:207]
	v_add_f64 v[12:13], v[204:205], v[12:13]
	v_mul_f64 v[204:205], v[202:203], s[34:35]
	v_add_f64 v[14:15], v[208:209], v[14:15]
	v_mul_f64 v[208:209], v[6:7], s[28:29]
	v_fma_f64 v[206:207], v[4:5], s[28:29], v[204:205]
	v_fma_f64 v[204:205], v[4:5], s[28:29], -v[204:205]
	v_fma_f64 v[210:211], v[200:201], s[26:27], v[208:209]
	v_fma_f64 v[208:209], v[200:201], s[34:35], v[208:209]
	v_add_f64 v[206:207], v[206:207], v[214:215]
	v_add_f64 v[204:205], v[204:205], v[212:213]
	v_mul_f64 v[212:213], v[202:203], s[38:39]
	v_add_f64 v[208:209], v[208:209], v[216:217]
	v_mul_f64 v[216:217], v[6:7], s[16:17]
	v_add_f64 v[210:211], v[210:211], v[220:221]
	v_fma_f64 v[214:215], v[4:5], s[16:17], v[212:213]
	v_fma_f64 v[212:213], v[4:5], s[16:17], -v[212:213]
	v_fma_f64 v[220:221], v[200:201], s[14:15], v[216:217]
	v_fma_f64 v[216:217], v[200:201], s[38:39], v[216:217]
	v_add_f64 v[214:215], v[214:215], v[222:223]
	v_add_f64 v[212:213], v[212:213], v[218:219]
	v_mul_f64 v[218:219], v[202:203], s[18:19]
	v_mul_f64 v[202:203], v[202:203], s[22:23]
	v_add_f64 v[216:217], v[216:217], v[225:226]
	v_mul_f64 v[225:226], v[6:7], s[20:21]
	v_mul_f64 v[6:7], v[6:7], s[24:25]
	v_add_f64 v[220:221], v[220:221], v[227:228]
	v_fma_f64 v[222:223], v[4:5], s[20:21], v[218:219]
	v_fma_f64 v[218:219], v[4:5], s[20:21], -v[218:219]
	v_fma_f64 v[227:228], v[200:201], s[36:37], v[225:226]
	v_fma_f64 v[225:226], v[200:201], s[18:19], v[225:226]
	v_add_f64 v[222:223], v[222:223], v[231:232]
	v_add_f64 v[218:219], v[218:219], v[229:230]
	v_fma_f64 v[229:230], v[4:5], s[24:25], v[202:203]
	v_fma_f64 v[4:5], v[4:5], s[24:25], -v[202:203]
	v_fma_f64 v[231:232], v[200:201], s[2:3], v[6:7]
	v_add_f64 v[225:226], v[225:226], v[233:234]
	v_add_f64 v[227:228], v[227:228], v[235:236]
	;; [unrolled: 1-line block ×4, first 2 shown]
	v_fma_f64 v[4:5], v[200:201], s[22:23], v[6:7]
	v_add_f64 v[6:7], v[194:195], v[198:199]
	v_add_f64 v[194:195], v[194:195], -v[198:199]
	v_add_f64 v[231:232], v[231:232], v[239:240]
	v_add_f64 v[2:3], v[4:5], v[2:3]
	;; [unrolled: 1-line block ×3, first 2 shown]
	v_add_f64 v[192:193], v[192:193], -v[196:197]
	v_mul_f64 v[196:197], v[194:195], s[22:23]
	v_fma_f64 v[198:199], v[4:5], s[24:25], v[196:197]
	v_fma_f64 v[196:197], v[4:5], s[24:25], -v[196:197]
	v_add_f64 v[10:11], v[198:199], v[10:11]
	v_mul_f64 v[198:199], v[6:7], s[24:25]
	v_add_f64 v[8:9], v[196:197], v[8:9]
	v_fma_f64 v[196:197], v[192:193], s[22:23], v[198:199]
	v_fma_f64 v[200:201], v[192:193], s[2:3], v[198:199]
	v_add_f64 v[12:13], v[196:197], v[12:13]
	v_mul_f64 v[196:197], v[194:195], s[30:31]
	v_add_f64 v[14:15], v[200:201], v[14:15]
	v_mul_f64 v[200:201], v[6:7], s[12:13]
	v_fma_f64 v[198:199], v[4:5], s[12:13], v[196:197]
	v_fma_f64 v[196:197], v[4:5], s[12:13], -v[196:197]
	v_fma_f64 v[202:203], v[192:193], s[4:5], v[200:201]
	v_add_f64 v[198:199], v[198:199], v[206:207]
	v_add_f64 v[204:205], v[196:197], v[204:205]
	v_fma_f64 v[196:197], v[192:193], s[30:31], v[200:201]
	v_add_f64 v[202:203], v[202:203], v[210:211]
	v_add_f64 v[200:201], v[196:197], v[208:209]
	v_mul_f64 v[196:197], v[194:195], s[18:19]
	v_mul_f64 v[208:209], v[6:7], s[20:21]
	v_fma_f64 v[206:207], v[4:5], s[20:21], v[196:197]
	v_fma_f64 v[196:197], v[4:5], s[20:21], -v[196:197]
	v_fma_f64 v[210:211], v[192:193], s[36:37], v[208:209]
	v_add_f64 v[206:207], v[206:207], v[214:215]
	v_add_f64 v[212:213], v[196:197], v[212:213]
	v_fma_f64 v[196:197], v[192:193], s[18:19], v[208:209]
	v_add_f64 v[210:211], v[210:211], v[220:221]
	v_add_f64 v[208:209], v[196:197], v[216:217]
	v_mul_f64 v[196:197], v[194:195], s[26:27]
	v_mul_f64 v[216:217], v[6:7], s[28:29]
	;; [unrolled: 1-line block ×4, first 2 shown]
	v_fma_f64 v[214:215], v[4:5], s[28:29], v[196:197]
	v_fma_f64 v[196:197], v[4:5], s[28:29], -v[196:197]
	v_fma_f64 v[220:221], v[192:193], s[34:35], v[216:217]
	v_add_f64 v[214:215], v[214:215], v[222:223]
	v_add_f64 v[218:219], v[196:197], v[218:219]
	v_fma_f64 v[196:197], v[192:193], s[26:27], v[216:217]
	v_add_f64 v[220:221], v[220:221], v[227:228]
	v_add_f64 v[227:228], v[184:185], -v[188:189]
	v_add_f64 v[216:217], v[196:197], v[225:226]
	v_fma_f64 v[196:197], v[4:5], s[16:17], v[194:195]
	v_fma_f64 v[4:5], v[4:5], s[16:17], -v[194:195]
	v_add_f64 v[222:223], v[196:197], v[229:230]
	v_add_f64 v[0:1], v[4:5], v[0:1]
	v_fma_f64 v[4:5], v[192:193], s[38:39], v[6:7]
	v_add_f64 v[229:230], v[186:187], -v[190:191]
	v_fma_f64 v[196:197], v[192:193], s[14:15], v[6:7]
	v_add_f64 v[6:7], v[186:187], v[190:191]
	v_add_f64 v[2:3], v[4:5], v[2:3]
	;; [unrolled: 1-line block ×3, first 2 shown]
	v_mul_f64 v[184:185], v[229:230], s[26:27]
	v_add_f64 v[225:226], v[196:197], v[231:232]
	v_fma_f64 v[186:187], v[4:5], s[28:29], v[184:185]
	v_add_f64 v[192:193], v[186:187], v[10:11]
	v_mul_f64 v[10:11], v[6:7], s[28:29]
	v_fma_f64 v[186:187], v[227:228], s[34:35], v[10:11]
	v_add_f64 v[194:195], v[186:187], v[14:15]
	v_fma_f64 v[14:15], v[4:5], s[28:29], -v[184:185]
	v_add_f64 v[188:189], v[14:15], v[8:9]
	v_fma_f64 v[8:9], v[227:228], s[26:27], v[10:11]
	v_add_f64 v[190:191], v[8:9], v[12:13]
	v_mul_f64 v[8:9], v[229:230], s[36:37]
	v_fma_f64 v[10:11], v[4:5], s[20:21], v[8:9]
	v_fma_f64 v[8:9], v[4:5], s[20:21], -v[8:9]
	v_add_f64 v[196:197], v[10:11], v[198:199]
	v_mul_f64 v[10:11], v[6:7], s[20:21]
	v_add_f64 v[184:185], v[8:9], v[204:205]
	v_fma_f64 v[8:9], v[227:228], s[36:37], v[10:11]
	v_fma_f64 v[12:13], v[227:228], s[18:19], v[10:11]
	v_add_f64 v[186:187], v[8:9], v[200:201]
	v_mul_f64 v[8:9], v[229:230], s[22:23]
	v_add_f64 v[198:199], v[12:13], v[202:203]
	v_fma_f64 v[10:11], v[4:5], s[24:25], v[8:9]
	v_fma_f64 v[8:9], v[4:5], s[24:25], -v[8:9]
	v_add_f64 v[200:201], v[10:11], v[206:207]
	v_mul_f64 v[10:11], v[6:7], s[24:25]
	v_add_f64 v[204:205], v[8:9], v[212:213]
	v_fma_f64 v[8:9], v[227:228], s[22:23], v[10:11]
	v_fma_f64 v[12:13], v[227:228], s[2:3], v[10:11]
	v_add_f64 v[206:207], v[8:9], v[208:209]
	v_mul_f64 v[8:9], v[229:230], s[38:39]
	v_add_f64 v[202:203], v[12:13], v[210:211]
	v_fma_f64 v[10:11], v[4:5], s[16:17], v[8:9]
	v_fma_f64 v[8:9], v[4:5], s[16:17], -v[8:9]
	v_add_f64 v[208:209], v[10:11], v[214:215]
	v_mul_f64 v[10:11], v[6:7], s[16:17]
	v_add_f64 v[212:213], v[8:9], v[218:219]
	v_mul_f64 v[6:7], v[6:7], s[12:13]
	v_fma_f64 v[8:9], v[227:228], s[38:39], v[10:11]
	v_fma_f64 v[12:13], v[227:228], s[14:15], v[10:11]
	v_add_f64 v[214:215], v[8:9], v[216:217]
	v_mul_f64 v[8:9], v[229:230], s[4:5]
	v_add_f64 v[210:211], v[12:13], v[220:221]
	v_fma_f64 v[10:11], v[4:5], s[12:13], v[8:9]
	v_fma_f64 v[4:5], v[4:5], s[12:13], -v[8:9]
	v_add_f64 v[216:217], v[10:11], v[222:223]
	v_fma_f64 v[10:11], v[227:228], s[30:31], v[6:7]
	v_add_f64 v[220:221], v[4:5], v[0:1]
	v_fma_f64 v[0:1], v[227:228], s[4:5], v[6:7]
	v_add_f64 v[218:219], v[10:11], v[225:226]
	v_add_f64 v[222:223], v[0:1], v[2:3]
	ds_write_b128 v251, v[180:183]
	ds_write_b128 v251, v[192:195] offset:16
	ds_write_b128 v251, v[196:199] offset:32
	ds_write_b128 v251, v[200:203] offset:48
	ds_write_b128 v251, v[208:211] offset:64
	ds_write_b128 v251, v[216:219] offset:80
	ds_write_b128 v251, v[220:223] offset:96
	ds_write_b128 v251, v[212:215] offset:112
	ds_write_b128 v251, v[204:207] offset:128
	ds_write_b128 v251, v[184:187] offset:144
	ds_write_b128 v251, v[188:191] offset:160
	s_waitcnt lgkmcnt(0)
	s_barrier
	ds_read_b128 v[196:199], v247
	ds_read_b128 v[220:223], v247 offset:9680
	ds_read_b128 v[204:207], v247 offset:19360
	;; [unrolled: 1-line block ×8, first 2 shown]
	s_and_saveexec_b64 s[2:3], s[0:1]
	s_cbranch_execz .LBB0_11
; %bb.10:
	ds_read_b128 v[184:187], v247 offset:7920
	ds_read_b128 v[188:191], v247 offset:17600
	;; [unrolled: 1-line block ×3, first 2 shown]
.LBB0_11:
	s_or_b64 exec, exec, s[2:3]
	s_waitcnt lgkmcnt(7)
	v_mul_f64 v[0:1], v[90:91], v[222:223]
	s_waitcnt lgkmcnt(6)
	v_mul_f64 v[4:5], v[86:87], v[206:207]
	v_mul_f64 v[2:3], v[90:91], v[220:221]
	;; [unrolled: 1-line block ×3, first 2 shown]
	s_waitcnt lgkmcnt(4)
	v_mul_f64 v[8:9], v[66:67], v[210:211]
	v_mul_f64 v[10:11], v[66:67], v[208:209]
	s_waitcnt lgkmcnt(3)
	v_mul_f64 v[12:13], v[62:63], v[214:215]
	v_mul_f64 v[14:15], v[62:63], v[212:213]
	v_fma_f64 v[0:1], v[88:89], v[220:221], v[0:1]
	v_fma_f64 v[4:5], v[84:85], v[204:205], v[4:5]
	s_waitcnt lgkmcnt(1)
	v_mul_f64 v[62:63], v[74:75], v[218:219]
	v_mul_f64 v[66:67], v[74:75], v[216:217]
	v_fma_f64 v[2:3], v[88:89], v[222:223], -v[2:3]
	v_fma_f64 v[6:7], v[84:85], v[206:207], -v[6:7]
	v_fma_f64 v[8:9], v[64:65], v[208:209], v[8:9]
	v_fma_f64 v[10:11], v[64:65], v[210:211], -v[10:11]
	s_waitcnt lgkmcnt(0)
	v_mul_f64 v[64:65], v[70:71], v[202:203]
	v_fma_f64 v[12:13], v[60:61], v[212:213], v[12:13]
	v_fma_f64 v[14:15], v[60:61], v[214:215], -v[14:15]
	v_fma_f64 v[60:61], v[72:73], v[216:217], v[62:63]
	v_mul_f64 v[62:63], v[70:71], v[200:201]
	v_fma_f64 v[66:67], v[72:73], v[218:219], -v[66:67]
	v_mul_f64 v[70:71], v[82:83], v[190:191]
	v_add_f64 v[72:73], v[0:1], v[4:5]
	v_mul_f64 v[74:75], v[82:83], v[188:189]
	v_mul_f64 v[82:83], v[78:79], v[178:179]
	;; [unrolled: 1-line block ×3, first 2 shown]
	v_fma_f64 v[64:65], v[68:69], v[200:201], v[64:65]
	v_fma_f64 v[62:63], v[68:69], v[202:203], -v[62:63]
	v_add_f64 v[84:85], v[196:197], v[0:1]
	v_fma_f64 v[68:69], v[80:81], v[188:189], v[70:71]
	v_fma_f64 v[86:87], v[72:73], -0.5, v[196:197]
	v_add_f64 v[88:89], v[2:3], -v[6:7]
	v_fma_f64 v[70:71], v[76:77], v[176:177], v[82:83]
	v_fma_f64 v[72:73], v[76:77], v[178:179], -v[78:79]
	v_add_f64 v[78:79], v[2:3], v[6:7]
	v_add_f64 v[82:83], v[8:9], v[12:13]
	v_add_f64 v[0:1], v[0:1], -v[4:5]
	s_mov_b32 s2, 0xe8584caa
	s_mov_b32 s3, 0xbfebb67a
	;; [unrolled: 1-line block ×4, first 2 shown]
	v_fma_f64 v[74:75], v[80:81], v[190:191], -v[74:75]
	v_fma_f64 v[90:91], v[78:79], -0.5, v[198:199]
	v_add_f64 v[76:77], v[84:85], v[4:5]
	v_fma_f64 v[80:81], v[88:89], s[2:3], v[86:87]
	v_add_f64 v[2:3], v[198:199], v[2:3]
	v_add_f64 v[4:5], v[10:11], v[14:15]
	v_fma_f64 v[84:85], v[88:89], s[4:5], v[86:87]
	v_fma_f64 v[178:179], v[82:83], -0.5, v[192:193]
	v_add_f64 v[88:89], v[192:193], v[8:9]
	v_fma_f64 v[82:83], v[0:1], s[4:5], v[90:91]
	v_fma_f64 v[86:87], v[0:1], s[2:3], v[90:91]
	v_add_f64 v[0:1], v[180:181], v[60:61]
	v_add_f64 v[188:189], v[10:11], -v[14:15]
	v_add_f64 v[78:79], v[2:3], v[6:7]
	v_add_f64 v[2:3], v[194:195], v[10:11]
	v_fma_f64 v[4:5], v[4:5], -0.5, v[194:195]
	v_add_f64 v[6:7], v[8:9], -v[12:13]
	v_add_f64 v[8:9], v[60:61], v[64:65]
	v_add_f64 v[10:11], v[182:183], v[66:67]
	;; [unrolled: 1-line block ×4, first 2 shown]
	v_fma_f64 v[176:177], v[188:189], s[2:3], v[178:179]
	v_fma_f64 v[188:189], v[188:189], s[4:5], v[178:179]
	v_add_f64 v[90:91], v[2:3], v[14:15]
	v_fma_f64 v[178:179], v[6:7], s[4:5], v[4:5]
	v_add_f64 v[2:3], v[66:67], v[62:63]
	v_fma_f64 v[190:191], v[6:7], s[2:3], v[4:5]
	v_fma_f64 v[6:7], v[8:9], -0.5, v[180:181]
	v_add_f64 v[8:9], v[66:67], -v[62:63]
	v_fma_f64 v[0:1], v[0:1], -0.5, v[186:187]
	v_add_f64 v[66:67], v[68:69], -v[70:71]
	v_add_f64 v[194:195], v[10:11], v[62:63]
	s_barrier
	v_add_f64 v[88:89], v[88:89], v[12:13]
	v_add_f64 v[4:5], v[68:69], v[70:71]
	v_add_f64 v[14:15], v[74:75], -v[72:73]
	v_fma_f64 v[62:63], v[66:67], s[4:5], v[0:1]
	v_fma_f64 v[66:67], v[66:67], s[2:3], v[0:1]
	buffer_load_dword v0, off, s[40:43], 0 offset:72 ; 4-byte Folded Reload
	v_fma_f64 v[2:3], v[2:3], -0.5, v[182:183]
	v_add_f64 v[12:13], v[60:61], -v[64:65]
	v_fma_f64 v[180:181], v[8:9], s[2:3], v[6:7]
	v_fma_f64 v[4:5], v[4:5], -0.5, v[184:185]
	v_fma_f64 v[196:197], v[8:9], s[4:5], v[6:7]
	s_waitcnt vmcnt(0)
	ds_write_b128 v0, v[76:79]
	ds_write_b128 v0, v[80:83] offset:176
	ds_write_b128 v0, v[84:87] offset:352
	buffer_load_dword v0, off, s[40:43], 0 offset:76 ; 4-byte Folded Reload
	v_fma_f64 v[60:61], v[14:15], s[2:3], v[4:5]
	v_fma_f64 v[64:65], v[14:15], s[4:5], v[4:5]
	;; [unrolled: 1-line block ×4, first 2 shown]
	s_waitcnt vmcnt(0)
	ds_write_b128 v0, v[88:91]
	ds_write_b128 v0, v[176:179] offset:176
	ds_write_b128 v0, v[188:191] offset:352
	buffer_load_dword v0, off, s[40:43], 0 offset:80 ; 4-byte Folded Reload
	s_waitcnt vmcnt(0)
	ds_write_b128 v0, v[192:195]
	ds_write_b128 v0, v[180:183] offset:176
	ds_write_b128 v0, v[196:199] offset:352
	s_and_saveexec_b64 s[2:3], s[0:1]
	s_cbranch_execz .LBB0_13
; %bb.12:
	v_add_f64 v[0:1], v[186:187], v[74:75]
	v_add_f64 v[2:3], v[184:185], v[68:69]
	;; [unrolled: 1-line block ×3, first 2 shown]
	buffer_load_dword v0, off, s[40:43], 0 offset:64 ; 4-byte Folded Reload
	buffer_load_dword v1, off, s[40:43], 0 offset:68 ; 4-byte Folded Reload
	v_add_f64 v[70:71], v[2:3], v[70:71]
	s_waitcnt vmcnt(0)
	v_mad_legacy_u16 v0, v0, 33, v1
	v_lshlrev_b32_e32 v0, 4, v0
	ds_write_b128 v0, v[60:63] offset:176
	ds_write_b128 v0, v[70:73]
	ds_write_b128 v0, v[64:67] offset:352
.LBB0_13:
	s_or_b64 exec, exec, s[2:3]
	s_waitcnt lgkmcnt(0)
	s_barrier
	ds_read_b128 v[72:75], v247
	ds_read_b128 v[68:71], v247 offset:2640
	ds_read_b128 v[180:183], v247 offset:5808
	;; [unrolled: 1-line block ×9, first 2 shown]
	s_and_saveexec_b64 s[0:1], vcc
	s_cbranch_execz .LBB0_15
; %bb.14:
	ds_read_b128 v[60:63], v247 offset:5280
	ds_read_b128 v[64:67], v247 offset:11088
	;; [unrolled: 1-line block ×5, first 2 shown]
.LBB0_15:
	s_or_b64 exec, exec, s[0:1]
	s_waitcnt lgkmcnt(7)
	v_mul_f64 v[0:1], v[122:123], v[182:183]
	s_waitcnt lgkmcnt(5)
	v_mul_f64 v[4:5], v[118:119], v[186:187]
	;; [unrolled: 2-line block ×3, first 2 shown]
	v_mul_f64 v[2:3], v[122:123], v[180:181]
	v_mul_f64 v[10:11], v[114:115], v[188:189]
	s_waitcnt lgkmcnt(1)
	v_mul_f64 v[12:13], v[110:111], v[178:179]
	v_mul_f64 v[14:15], v[110:111], v[176:177]
	;; [unrolled: 1-line block ×3, first 2 shown]
	v_fma_f64 v[0:1], v[120:121], v[180:181], v[0:1]
	v_fma_f64 v[4:5], v[116:117], v[184:185], v[4:5]
	;; [unrolled: 1-line block ×3, first 2 shown]
	v_mul_f64 v[6:7], v[118:119], v[184:185]
	v_fma_f64 v[2:3], v[120:121], v[182:183], -v[2:3]
	v_fma_f64 v[10:11], v[112:113], v[190:191], -v[10:11]
	v_fma_f64 v[12:13], v[108:109], v[176:177], v[12:13]
	v_fma_f64 v[14:15], v[108:109], v[178:179], -v[14:15]
	v_mul_f64 v[106:107], v[106:107], v[88:89]
	v_mul_f64 v[108:109], v[102:103], v[86:87]
	v_add_f64 v[112:113], v[72:73], v[0:1]
	v_mul_f64 v[102:103], v[102:103], v[84:85]
	v_add_f64 v[114:115], v[4:5], v[8:9]
	v_fma_f64 v[110:111], v[104:105], v[88:89], v[110:111]
	v_mul_f64 v[88:89], v[98:99], v[82:83]
	v_mul_f64 v[98:99], v[98:99], v[80:81]
	v_fma_f64 v[6:7], v[116:117], v[186:187], -v[6:7]
	v_fma_f64 v[104:105], v[104:105], v[90:91], -v[106:107]
	v_fma_f64 v[106:107], v[100:101], v[84:85], v[108:109]
	v_add_f64 v[84:85], v[112:113], v[4:5]
	v_fma_f64 v[100:101], v[100:101], v[86:87], -v[102:103]
	v_fma_f64 v[86:87], v[114:115], -0.5, v[72:73]
	v_add_f64 v[90:91], v[2:3], -v[14:15]
	v_fma_f64 v[102:103], v[96:97], v[80:81], v[88:89]
	v_fma_f64 v[96:97], v[96:97], v[82:83], -v[98:99]
	s_waitcnt lgkmcnt(0)
	v_mul_f64 v[82:83], v[94:95], v[76:77]
	v_add_f64 v[112:113], v[0:1], v[12:13]
	s_mov_b32 s0, 0x134454ff
	s_mov_b32 s1, 0xbfee6f0e
	;; [unrolled: 1-line block ×4, first 2 shown]
	v_mul_f64 v[80:81], v[94:95], v[78:79]
	v_add_f64 v[84:85], v[84:85], v[8:9]
	v_fma_f64 v[88:89], v[90:91], s[0:1], v[86:87]
	v_add_f64 v[94:95], v[6:7], -v[10:11]
	v_add_f64 v[98:99], v[0:1], -v[4:5]
	;; [unrolled: 1-line block ×3, first 2 shown]
	v_fma_f64 v[116:117], v[92:93], v[78:79], -v[82:83]
	v_fma_f64 v[72:73], v[112:113], -0.5, v[72:73]
	v_fma_f64 v[82:83], v[90:91], s[14:15], v[86:87]
	s_mov_b32 s4, 0x4755a5e
	s_mov_b32 s5, 0xbfe2cf23
	;; [unrolled: 1-line block ×4, first 2 shown]
	v_fma_f64 v[114:115], v[92:93], v[76:77], v[80:81]
	v_add_f64 v[76:77], v[84:85], v[12:13]
	v_fma_f64 v[78:79], v[94:95], s[4:5], v[88:89]
	v_add_f64 v[80:81], v[98:99], v[108:109]
	v_add_f64 v[84:85], v[74:75], v[2:3]
	;; [unrolled: 1-line block ×3, first 2 shown]
	v_fma_f64 v[88:89], v[94:95], s[14:15], v[72:73]
	v_fma_f64 v[82:83], v[94:95], s[12:13], v[82:83]
	;; [unrolled: 1-line block ×3, first 2 shown]
	s_mov_b32 s2, 0x372fe950
	s_mov_b32 s3, 0x3fd3c6ef
	v_add_f64 v[92:93], v[4:5], -v[0:1]
	v_add_f64 v[98:99], v[8:9], -v[12:13]
	v_add_f64 v[84:85], v[84:85], v[6:7]
	v_fma_f64 v[86:87], v[86:87], -0.5, v[74:75]
	v_add_f64 v[0:1], v[0:1], -v[12:13]
	v_fma_f64 v[12:13], v[90:91], s[4:5], v[88:89]
	v_fma_f64 v[72:73], v[80:81], s[2:3], v[78:79]
	;; [unrolled: 1-line block ×3, first 2 shown]
	v_add_f64 v[90:91], v[2:3], v[14:15]
	v_add_f64 v[88:89], v[92:93], v[98:99]
	v_fma_f64 v[80:81], v[80:81], s[2:3], v[82:83]
	v_add_f64 v[82:83], v[84:85], v[10:11]
	v_fma_f64 v[92:93], v[0:1], s[14:15], v[86:87]
	v_add_f64 v[4:5], v[4:5], -v[8:9]
	v_add_f64 v[8:9], v[106:107], v[102:103]
	v_add_f64 v[94:95], v[14:15], -v[10:11]
	v_fma_f64 v[74:75], v[90:91], -0.5, v[74:75]
	v_fma_f64 v[84:85], v[88:89], s[2:3], v[12:13]
	v_add_f64 v[12:13], v[2:3], -v[6:7]
	v_fma_f64 v[88:89], v[88:89], s[2:3], v[78:79]
	v_add_f64 v[78:79], v[82:83], v[14:15]
	v_fma_f64 v[82:83], v[4:5], s[12:13], v[92:93]
	v_add_f64 v[90:91], v[68:69], v[110:111]
	v_fma_f64 v[8:9], v[8:9], -0.5, v[68:69]
	v_add_f64 v[98:99], v[104:105], -v[116:117]
	v_fma_f64 v[92:93], v[4:5], s[0:1], v[74:75]
	v_add_f64 v[2:3], v[6:7], -v[2:3]
	v_add_f64 v[6:7], v[10:11], -v[14:15]
	v_fma_f64 v[10:11], v[4:5], s[14:15], v[74:75]
	v_fma_f64 v[86:87], v[0:1], s[0:1], v[86:87]
	v_add_f64 v[12:13], v[12:13], v[94:95]
	v_add_f64 v[14:15], v[90:91], v[106:107]
	v_fma_f64 v[74:75], v[98:99], s[0:1], v[8:9]
	v_add_f64 v[94:95], v[100:101], -v[96:97]
	v_add_f64 v[90:91], v[110:111], -v[106:107]
	;; [unrolled: 1-line block ×3, first 2 shown]
	v_fma_f64 v[92:93], v[0:1], s[12:13], v[92:93]
	v_add_f64 v[2:3], v[2:3], v[6:7]
	v_fma_f64 v[0:1], v[0:1], s[4:5], v[10:11]
	v_fma_f64 v[4:5], v[4:5], s[4:5], v[86:87]
	v_add_f64 v[86:87], v[110:111], v[114:115]
	v_add_f64 v[6:7], v[14:15], v[102:103]
	v_fma_f64 v[10:11], v[94:95], s[4:5], v[74:75]
	v_add_f64 v[14:15], v[90:91], v[108:109]
	v_fma_f64 v[74:75], v[12:13], s[2:3], v[82:83]
	v_fma_f64 v[90:91], v[2:3], s[2:3], v[0:1]
	v_add_f64 v[0:1], v[100:101], v[96:97]
	v_fma_f64 v[108:109], v[86:87], -0.5, v[68:69]
	v_fma_f64 v[86:87], v[2:3], s[2:3], v[92:93]
	v_fma_f64 v[2:3], v[98:99], s[14:15], v[8:9]
	v_add_f64 v[8:9], v[104:105], v[116:117]
	v_fma_f64 v[82:83], v[12:13], s[2:3], v[4:5]
	v_add_f64 v[12:13], v[70:71], v[104:105]
	v_add_f64 v[68:69], v[6:7], v[114:115]
	v_fma_f64 v[92:93], v[14:15], s[2:3], v[10:11]
	v_add_f64 v[6:7], v[106:107], -v[110:111]
	v_add_f64 v[10:11], v[102:103], -v[114:115]
	v_fma_f64 v[0:1], v[0:1], -0.5, v[70:71]
	v_add_f64 v[110:111], v[110:111], -v[114:115]
	v_add_f64 v[102:103], v[106:107], -v[102:103]
	v_fma_f64 v[8:9], v[8:9], -0.5, v[70:71]
	v_add_f64 v[12:13], v[12:13], v[100:101]
	v_fma_f64 v[4:5], v[94:95], s[14:15], v[108:109]
	v_fma_f64 v[2:3], v[94:95], s[12:13], v[2:3]
	v_add_f64 v[6:7], v[6:7], v[10:11]
	v_fma_f64 v[10:11], v[94:95], s[0:1], v[108:109]
	v_fma_f64 v[70:71], v[110:111], s[14:15], v[0:1]
	v_add_f64 v[94:95], v[104:105], -v[100:101]
	v_add_f64 v[106:107], v[116:117], -v[96:97]
	v_fma_f64 v[0:1], v[110:111], s[0:1], v[0:1]
	v_fma_f64 v[108:109], v[102:103], s[0:1], v[8:9]
	v_add_f64 v[100:101], v[100:101], -v[104:105]
	v_add_f64 v[104:105], v[96:97], -v[116:117]
	v_fma_f64 v[8:9], v[102:103], s[14:15], v[8:9]
	v_add_f64 v[12:13], v[12:13], v[96:97]
	v_fma_f64 v[4:5], v[98:99], s[4:5], v[4:5]
	v_fma_f64 v[10:11], v[98:99], s[12:13], v[10:11]
	;; [unrolled: 1-line block ×3, first 2 shown]
	v_add_f64 v[106:107], v[94:95], v[106:107]
	v_fma_f64 v[0:1], v[102:103], s[4:5], v[0:1]
	v_fma_f64 v[102:103], v[110:111], s[12:13], v[108:109]
	v_add_f64 v[108:109], v[100:101], v[104:105]
	v_fma_f64 v[8:9], v[110:111], s[4:5], v[8:9]
	v_add_f64 v[70:71], v[12:13], v[116:117]
	v_fma_f64 v[100:101], v[6:7], s[2:3], v[4:5]
	v_fma_f64 v[96:97], v[14:15], s[2:3], v[2:3]
	;; [unrolled: 1-line block ×7, first 2 shown]
	s_barrier
	ds_write_b128 v249, v[76:79]
	ds_write_b128 v249, v[72:75] offset:528
	ds_write_b128 v249, v[84:87] offset:1056
	;; [unrolled: 1-line block ×4, first 2 shown]
	ds_write_b128 v250, v[68:71]
	ds_write_b128 v250, v[92:95] offset:528
	ds_write_b128 v250, v[100:103] offset:1056
	;; [unrolled: 1-line block ×4, first 2 shown]
	s_and_saveexec_b64 s[16:17], vcc
	s_cbranch_execz .LBB0_17
; %bb.16:
	v_mul_f64 v[2:3], v[50:51], v[64:65]
	v_mul_f64 v[4:5], v[54:55], v[156:157]
	;; [unrolled: 1-line block ×8, first 2 shown]
	v_fma_f64 v[2:3], v[48:49], v[66:67], -v[2:3]
	v_fma_f64 v[4:5], v[52:53], v[158:159], -v[4:5]
	;; [unrolled: 1-line block ×4, first 2 shown]
	v_fma_f64 v[8:9], v[44:45], v[148:149], v[8:9]
	v_fma_f64 v[10:11], v[56:57], v[152:153], v[10:11]
	;; [unrolled: 1-line block ×4, first 2 shown]
	v_add_f64 v[64:65], v[62:63], v[2:3]
	v_add_f64 v[44:45], v[2:3], v[4:5]
	v_add_f64 v[46:47], v[0:1], -v[2:3]
	v_add_f64 v[54:55], v[0:1], v[6:7]
	v_add_f64 v[48:49], v[6:7], -v[4:5]
	v_add_f64 v[50:51], v[8:9], -v[10:11]
	;; [unrolled: 1-line block ×5, first 2 shown]
	v_fma_f64 v[44:45], v[44:45], -0.5, v[62:63]
	v_add_f64 v[74:75], v[8:9], v[10:11]
	v_fma_f64 v[54:55], v[54:55], -0.5, v[62:63]
	v_add_f64 v[2:3], v[2:3], -v[4:5]
	v_add_f64 v[62:63], v[12:13], v[14:15]
	v_add_f64 v[72:73], v[0:1], -v[6:7]
	v_add_f64 v[48:49], v[46:47], v[48:49]
	v_add_f64 v[0:1], v[64:65], v[0:1]
	v_fma_f64 v[70:71], v[50:51], s[14:15], v[44:45]
	v_fma_f64 v[44:45], v[50:51], s[0:1], v[44:45]
	;; [unrolled: 1-line block ×4, first 2 shown]
	v_add_f64 v[76:77], v[60:61], v[12:13]
	v_add_f64 v[66:67], v[8:9], -v[12:13]
	v_add_f64 v[12:13], v[12:13], -v[8:9]
	v_add_f64 v[0:1], v[0:1], v[6:7]
	v_fma_f64 v[70:71], v[52:53], s[4:5], v[70:71]
	v_fma_f64 v[44:45], v[52:53], s[12:13], v[44:45]
	v_add_f64 v[52:53], v[56:57], v[58:59]
	v_fma_f64 v[58:59], v[74:75], -0.5, v[60:61]
	v_fma_f64 v[56:57], v[62:63], -0.5, v[60:61]
	v_fma_f64 v[60:61], v[50:51], s[4:5], v[46:47]
	v_fma_f64 v[62:63], v[50:51], s[12:13], v[54:55]
	v_add_f64 v[8:9], v[76:77], v[8:9]
	v_fma_f64 v[46:47], v[48:49], s[2:3], v[70:71]
	v_fma_f64 v[50:51], v[48:49], s[2:3], v[44:45]
	v_add_f64 v[44:45], v[14:15], -v[10:11]
	v_fma_f64 v[48:49], v[2:3], s[0:1], v[58:59]
	v_fma_f64 v[58:59], v[2:3], s[14:15], v[58:59]
	v_add_f64 v[68:69], v[10:11], -v[14:15]
	v_fma_f64 v[54:55], v[72:73], s[14:15], v[56:57]
	v_fma_f64 v[56:57], v[72:73], s[0:1], v[56:57]
	v_add_f64 v[8:9], v[8:9], v[10:11]
	v_add_f64 v[12:13], v[12:13], v[44:45]
	v_fma_f64 v[10:11], v[72:73], s[4:5], v[48:49]
	v_fma_f64 v[64:65], v[72:73], s[12:13], v[58:59]
	;; [unrolled: 1-line block ×3, first 2 shown]
	v_add_f64 v[62:63], v[0:1], v[4:5]
	buffer_load_dword v0, off, s[40:43], 0 offset:84 ; 4-byte Folded Reload
	v_add_f64 v[6:7], v[66:67], v[68:69]
	v_fma_f64 v[44:45], v[2:3], s[4:5], v[54:55]
	v_fma_f64 v[2:3], v[2:3], s[12:13], v[56:57]
	;; [unrolled: 1-line block ×3, first 2 shown]
	v_add_f64 v[60:61], v[8:9], v[14:15]
	v_fma_f64 v[56:57], v[12:13], s[2:3], v[10:11]
	v_fma_f64 v[52:53], v[12:13], s[2:3], v[64:65]
	;; [unrolled: 1-line block ×4, first 2 shown]
	s_waitcnt vmcnt(0)
	ds_write_b128 v0, v[60:63] offset:26400
	ds_write_b128 v0, v[56:59] offset:26928
	;; [unrolled: 1-line block ×5, first 2 shown]
.LBB0_17:
	s_or_b64 exec, exec, s[16:17]
	s_waitcnt lgkmcnt(0)
	s_barrier
	ds_read_b128 v[44:47], v247 offset:2640
	ds_read_b128 v[56:59], v247
	ds_read_b128 v[48:51], v247 offset:5280
	ds_read_b128 v[52:55], v247 offset:7920
	s_mov_b32 s12, 0xf8bb580b
	s_waitcnt lgkmcnt(3)
	v_mul_f64 v[2:3], v[162:163], v[44:45]
	v_mul_f64 v[0:1], v[162:163], v[46:47]
	s_waitcnt lgkmcnt(1)
	v_mul_f64 v[6:7], v[146:147], v[48:49]
	v_mul_f64 v[4:5], v[146:147], v[50:51]
	;; [unrolled: 3-line block ×3, first 2 shown]
	s_mov_b32 s4, 0x8764f0ba
	s_mov_b32 s13, 0xbfe14ced
	v_fma_f64 v[2:3], v[160:161], v[46:47], -v[2:3]
	v_fma_f64 v[0:1], v[160:161], v[44:45], v[0:1]
	v_fma_f64 v[6:7], v[144:145], v[50:51], -v[6:7]
	ds_read_b128 v[44:47], v247 offset:10560
	v_fma_f64 v[4:5], v[144:145], v[48:49], v[4:5]
	ds_read_b128 v[48:51], v247 offset:13200
	v_fma_f64 v[10:11], v[136:137], v[54:55], -v[10:11]
	v_fma_f64 v[8:9], v[136:137], v[52:53], v[8:9]
	v_add_f64 v[14:15], v[58:59], v[2:3]
	v_add_f64 v[12:13], v[56:57], v[0:1]
	s_waitcnt lgkmcnt(1)
	v_mul_f64 v[66:67], v[130:131], v[44:45]
	v_mul_f64 v[64:65], v[130:131], v[46:47]
	s_waitcnt lgkmcnt(0)
	v_mul_f64 v[74:75], v[170:171], v[48:49]
	ds_read_b128 v[52:55], v247 offset:15840
	ds_read_b128 v[60:63], v247 offset:18480
	v_mul_f64 v[72:73], v[170:171], v[50:51]
	s_mov_b32 s5, 0x3feaeb8c
	v_add_f64 v[14:15], v[14:15], v[6:7]
	v_add_f64 v[12:13], v[12:13], v[4:5]
	v_fma_f64 v[78:79], v[128:129], v[46:47], -v[66:67]
	v_fma_f64 v[76:77], v[128:129], v[44:45], v[64:65]
	s_waitcnt lgkmcnt(1)
	v_mul_f64 v[80:81], v[142:143], v[54:55]
	v_mul_f64 v[82:83], v[142:143], v[52:53]
	v_fma_f64 v[50:51], v[168:169], v[50:51], -v[74:75]
	ds_read_b128 v[44:47], v247 offset:21120
	ds_read_b128 v[64:67], v247 offset:23760
	;; [unrolled: 1-line block ×3, first 2 shown]
	v_add_f64 v[14:15], v[14:15], v[10:11]
	v_add_f64 v[12:13], v[12:13], v[8:9]
	v_fma_f64 v[48:49], v[168:169], v[48:49], v[72:73]
	s_waitcnt lgkmcnt(3)
	v_mul_f64 v[72:73], v[134:135], v[62:63]
	v_mul_f64 v[74:75], v[134:135], v[60:61]
	v_fma_f64 v[52:53], v[140:141], v[52:53], v[80:81]
	v_fma_f64 v[54:55], v[140:141], v[54:55], -v[82:83]
	s_waitcnt lgkmcnt(0)
	v_mul_f64 v[80:81], v[166:167], v[68:69]
	v_add_f64 v[14:15], v[14:15], v[78:79]
	v_add_f64 v[12:13], v[12:13], v[76:77]
	v_mul_f64 v[82:83], v[126:127], v[46:47]
	v_mul_f64 v[84:85], v[126:127], v[44:45]
	v_fma_f64 v[60:61], v[132:133], v[60:61], v[72:73]
	v_fma_f64 v[62:63], v[132:133], v[62:63], -v[74:75]
	v_mul_f64 v[72:73], v[166:167], v[70:71]
	v_fma_f64 v[70:71], v[164:165], v[70:71], -v[80:81]
	v_add_f64 v[14:15], v[14:15], v[50:51]
	v_add_f64 v[12:13], v[12:13], v[48:49]
	v_mul_f64 v[74:75], v[174:175], v[66:67]
	v_mul_f64 v[80:81], v[174:175], v[64:65]
	v_fma_f64 v[82:83], v[124:125], v[44:45], v[82:83]
	v_fma_f64 v[84:85], v[124:125], v[46:47], -v[84:85]
	v_fma_f64 v[44:45], v[164:165], v[68:69], v[72:73]
	v_add_f64 v[68:69], v[2:3], -v[70:71]
	v_add_f64 v[14:15], v[14:15], v[54:55]
	v_add_f64 v[12:13], v[12:13], v[52:53]
	;; [unrolled: 1-line block ×3, first 2 shown]
	v_fma_f64 v[64:65], v[172:173], v[64:65], v[74:75]
	v_fma_f64 v[66:67], v[172:173], v[66:67], -v[80:81]
	s_mov_b32 s19, 0x3fe14ced
	v_add_f64 v[72:73], v[0:1], v[44:45]
	v_mul_f64 v[74:75], v[68:69], s[12:13]
	v_add_f64 v[14:15], v[14:15], v[62:63]
	v_add_f64 v[12:13], v[12:13], v[60:61]
	v_add_f64 v[0:1], v[0:1], -v[44:45]
	v_mul_f64 v[80:81], v[2:3], s[4:5]
	s_mov_b32 s18, s12
	s_mov_b32 s0, 0x8eee2c13
	;; [unrolled: 1-line block ×3, first 2 shown]
	v_fma_f64 v[86:87], v[72:73], s[4:5], v[74:75]
	v_add_f64 v[14:15], v[14:15], v[84:85]
	v_add_f64 v[12:13], v[12:13], v[82:83]
	s_mov_b32 s16, 0x43842ef
	v_fma_f64 v[92:93], v[0:1], s[18:19], v[80:81]
	s_mov_b32 s20, 0x640f44db
	s_mov_b32 s24, 0xbb3a28a1
	;; [unrolled: 1-line block ×4, first 2 shown]
	v_add_f64 v[14:15], v[14:15], v[66:67]
	s_mov_b32 s34, 0x9bcd5057
	s_mov_b32 s1, 0xbfed1bb4
	;; [unrolled: 1-line block ×9, first 2 shown]
	v_add_f64 v[12:13], v[12:13], v[64:65]
	v_mul_f64 v[88:89], v[68:69], s[0:1]
	v_mul_f64 v[90:91], v[2:3], s[2:3]
	v_add_f64 v[46:47], v[14:15], v[70:71]
	v_add_f64 v[14:15], v[56:57], v[86:87]
	;; [unrolled: 1-line block ×3, first 2 shown]
	v_mul_f64 v[92:93], v[68:69], s[16:17]
	v_mul_f64 v[96:97], v[2:3], s[20:21]
	;; [unrolled: 1-line block ×6, first 2 shown]
	v_add_f64 v[108:109], v[6:7], -v[66:67]
	v_add_f64 v[6:7], v[6:7], v[66:67]
	s_mov_b32 s15, 0x3fed1bb4
	s_mov_b32 s14, s0
	;; [unrolled: 1-line block ×8, first 2 shown]
	v_add_f64 v[44:45], v[12:13], v[44:45]
	v_fma_f64 v[12:13], v[72:73], s[4:5], -v[74:75]
	v_fma_f64 v[70:71], v[0:1], s[12:13], v[80:81]
	v_fma_f64 v[80:81], v[0:1], s[14:15], v[90:91]
	;; [unrolled: 1-line block ×9, first 2 shown]
	v_add_f64 v[112:113], v[4:5], v[64:65]
	v_add_f64 v[4:5], v[4:5], -v[64:65]
	v_mul_f64 v[64:65], v[108:109], s[0:1]
	v_mul_f64 v[114:115], v[6:7], s[2:3]
	v_fma_f64 v[0:1], v[0:1], s[30:31], v[2:3]
	v_fma_f64 v[74:75], v[72:73], s[2:3], v[88:89]
	v_add_f64 v[12:13], v[56:57], v[12:13]
	v_add_f64 v[70:71], v[58:59], v[70:71]
	;; [unrolled: 1-line block ×3, first 2 shown]
	v_fma_f64 v[88:89], v[72:73], s[2:3], -v[88:89]
	v_fma_f64 v[94:95], v[72:73], s[20:21], v[92:93]
	v_fma_f64 v[92:93], v[72:73], s[20:21], -v[92:93]
	v_fma_f64 v[104:105], v[72:73], s[26:27], v[98:99]
	v_add_f64 v[90:91], v[58:59], v[90:91]
	v_add_f64 v[102:103], v[58:59], v[102:103]
	;; [unrolled: 1-line block ×4, first 2 shown]
	v_fma_f64 v[98:99], v[72:73], s[26:27], -v[98:99]
	v_add_f64 v[100:101], v[58:59], v[100:101]
	v_fma_f64 v[68:69], v[72:73], s[34:35], -v[68:69]
	v_add_f64 v[2:3], v[56:57], v[66:67]
	v_add_f64 v[66:67], v[58:59], v[110:111]
	v_mul_f64 v[72:73], v[108:109], s[24:25]
	v_mul_f64 v[110:111], v[6:7], s[26:27]
	v_fma_f64 v[116:117], v[112:113], s[2:3], v[64:65]
	v_fma_f64 v[118:119], v[4:5], s[14:15], v[114:115]
	v_add_f64 v[0:1], v[58:59], v[0:1]
	v_fma_f64 v[58:59], v[112:113], s[2:3], -v[64:65]
	v_fma_f64 v[64:65], v[4:5], s[0:1], v[114:115]
	v_add_f64 v[74:75], v[56:57], v[74:75]
	v_add_f64 v[88:89], v[56:57], v[88:89]
	;; [unrolled: 1-line block ×7, first 2 shown]
	v_fma_f64 v[68:69], v[112:113], s[26:27], v[72:73]
	v_fma_f64 v[114:115], v[4:5], s[28:29], v[110:111]
	v_add_f64 v[14:15], v[116:117], v[14:15]
	v_add_f64 v[86:87], v[118:119], v[86:87]
	v_mul_f64 v[116:117], v[108:109], s[36:37]
	v_mul_f64 v[118:119], v[6:7], s[34:35]
	v_add_f64 v[12:13], v[58:59], v[12:13]
	v_add_f64 v[58:59], v[64:65], v[70:71]
	v_fma_f64 v[70:71], v[112:113], s[26:27], -v[72:73]
	v_fma_f64 v[72:73], v[4:5], s[24:25], v[110:111]
	v_mul_f64 v[110:111], v[108:109], s[22:23]
	v_add_f64 v[64:65], v[68:69], v[74:75]
	v_add_f64 v[68:69], v[114:115], v[80:81]
	v_fma_f64 v[74:75], v[112:113], s[34:35], v[116:117]
	v_fma_f64 v[80:81], v[4:5], s[30:31], v[118:119]
	v_mul_f64 v[114:115], v[6:7], s[20:21]
	v_fma_f64 v[118:119], v[4:5], s[36:37], v[118:119]
	v_add_f64 v[70:71], v[70:71], v[88:89]
	v_fma_f64 v[88:89], v[112:113], s[20:21], v[110:111]
	v_mul_f64 v[6:7], v[6:7], s[4:5]
	v_add_f64 v[72:73], v[72:73], v[90:91]
	v_add_f64 v[74:75], v[74:75], v[94:95]
	v_add_f64 v[80:81], v[80:81], v[102:103]
	v_fma_f64 v[102:103], v[4:5], s[22:23], v[114:115]
	v_add_f64 v[94:95], v[118:119], v[96:97]
	v_fma_f64 v[96:97], v[112:113], s[20:21], -v[110:111]
	v_add_f64 v[88:89], v[88:89], v[104:105]
	v_add_f64 v[104:105], v[10:11], -v[84:85]
	v_fma_f64 v[90:91], v[4:5], s[16:17], v[114:115]
	v_mul_f64 v[108:109], v[108:109], s[18:19]
	v_add_f64 v[10:11], v[10:11], v[84:85]
	v_fma_f64 v[116:117], v[112:113], s[34:35], -v[116:117]
	v_add_f64 v[84:85], v[96:97], v[98:99]
	v_add_f64 v[96:97], v[102:103], v[100:101]
	v_fma_f64 v[100:101], v[4:5], s[12:13], v[6:7]
	v_add_f64 v[102:103], v[8:9], v[82:83]
	v_add_f64 v[8:9], v[8:9], -v[82:83]
	v_mul_f64 v[82:83], v[104:105], s[16:17]
	v_add_f64 v[90:91], v[90:91], v[106:107]
	v_fma_f64 v[98:99], v[112:113], s[4:5], v[108:109]
	v_mul_f64 v[106:107], v[10:11], s[20:21]
	v_fma_f64 v[4:5], v[4:5], s[18:19], v[6:7]
	v_add_f64 v[6:7], v[100:101], v[66:67]
	v_mul_f64 v[66:67], v[104:105], s[36:37]
	v_fma_f64 v[108:109], v[112:113], s[4:5], -v[108:109]
	v_fma_f64 v[100:101], v[102:103], s[20:21], v[82:83]
	v_add_f64 v[92:93], v[116:117], v[92:93]
	v_add_f64 v[2:3], v[98:99], v[2:3]
	v_mul_f64 v[98:99], v[10:11], s[34:35]
	v_fma_f64 v[110:111], v[8:9], s[22:23], v[106:107]
	v_add_f64 v[0:1], v[4:5], v[0:1]
	v_fma_f64 v[4:5], v[102:103], s[20:21], -v[82:83]
	v_fma_f64 v[82:83], v[8:9], s[16:17], v[106:107]
	v_fma_f64 v[106:107], v[102:103], s[34:35], v[66:67]
	v_add_f64 v[14:15], v[100:101], v[14:15]
	v_mul_f64 v[100:101], v[104:105], s[14:15]
	v_add_f64 v[56:57], v[108:109], v[56:57]
	v_fma_f64 v[108:109], v[8:9], s[30:31], v[98:99]
	v_add_f64 v[86:87], v[110:111], v[86:87]
	v_mul_f64 v[110:111], v[10:11], s[2:3]
	v_add_f64 v[4:5], v[4:5], v[12:13]
	v_add_f64 v[12:13], v[82:83], v[58:59]
	;; [unrolled: 1-line block ×3, first 2 shown]
	v_fma_f64 v[66:67], v[102:103], s[34:35], -v[66:67]
	v_fma_f64 v[82:83], v[102:103], s[2:3], v[100:101]
	v_mul_f64 v[106:107], v[104:105], s[12:13]
	v_add_f64 v[64:65], v[108:109], v[68:69]
	v_fma_f64 v[68:69], v[8:9], s[36:37], v[98:99]
	v_fma_f64 v[98:99], v[8:9], s[0:1], v[110:111]
	v_fma_f64 v[100:101], v[102:103], s[2:3], -v[100:101]
	v_fma_f64 v[110:111], v[8:9], s[14:15], v[110:111]
	v_add_f64 v[66:67], v[66:67], v[70:71]
	v_add_f64 v[70:71], v[82:83], v[74:75]
	v_fma_f64 v[74:75], v[102:103], s[4:5], v[106:107]
	v_mul_f64 v[108:109], v[10:11], s[4:5]
	v_add_f64 v[68:69], v[68:69], v[72:73]
	v_add_f64 v[72:73], v[98:99], v[80:81]
	;; [unrolled: 1-line block ×4, first 2 shown]
	v_mul_f64 v[94:95], v[104:105], s[24:25]
	v_fma_f64 v[98:99], v[102:103], s[4:5], -v[106:107]
	v_add_f64 v[74:75], v[74:75], v[88:89]
	v_add_f64 v[88:89], v[78:79], -v[62:63]
	v_fma_f64 v[80:81], v[8:9], s[18:19], v[108:109]
	v_mul_f64 v[10:11], v[10:11], s[26:27]
	v_fma_f64 v[100:101], v[8:9], s[12:13], v[108:109]
	v_add_f64 v[62:63], v[78:79], v[62:63]
	v_fma_f64 v[78:79], v[102:103], s[26:27], v[94:95]
	v_add_f64 v[84:85], v[98:99], v[84:85]
	v_add_f64 v[98:99], v[76:77], v[60:61]
	v_add_f64 v[60:61], v[76:77], -v[60:61]
	v_mul_f64 v[76:77], v[88:89], s[24:25]
	v_add_f64 v[80:81], v[80:81], v[90:91]
	v_fma_f64 v[90:91], v[8:9], s[28:29], v[10:11]
	v_add_f64 v[96:97], v[100:101], v[96:97]
	v_mul_f64 v[100:101], v[62:63], s[26:27]
	v_add_f64 v[2:3], v[78:79], v[2:3]
	v_fma_f64 v[78:79], v[102:103], s[26:27], -v[94:95]
	v_fma_f64 v[8:9], v[8:9], s[24:25], v[10:11]
	v_fma_f64 v[94:95], v[98:99], s[26:27], v[76:77]
	v_fma_f64 v[76:77], v[98:99], s[26:27], -v[76:77]
	v_add_f64 v[6:7], v[90:91], v[6:7]
	v_mul_f64 v[10:11], v[88:89], s[22:23]
	v_mul_f64 v[90:91], v[62:63], s[20:21]
	v_fma_f64 v[102:103], v[60:61], s[28:29], v[100:101]
	v_fma_f64 v[100:101], v[60:61], s[24:25], v[100:101]
	v_add_f64 v[56:57], v[78:79], v[56:57]
	v_add_f64 v[14:15], v[94:95], v[14:15]
	;; [unrolled: 1-line block ×3, first 2 shown]
	v_mul_f64 v[76:77], v[88:89], s[12:13]
	v_mul_f64 v[94:95], v[62:63], s[4:5]
	v_add_f64 v[0:1], v[8:9], v[0:1]
	v_fma_f64 v[8:9], v[98:99], s[20:21], v[10:11]
	v_fma_f64 v[78:79], v[60:61], s[16:17], v[90:91]
	v_add_f64 v[86:87], v[102:103], v[86:87]
	v_add_f64 v[12:13], v[100:101], v[12:13]
	v_fma_f64 v[10:11], v[98:99], s[20:21], -v[10:11]
	v_fma_f64 v[90:91], v[60:61], s[22:23], v[90:91]
	v_fma_f64 v[100:101], v[98:99], s[4:5], v[76:77]
	;; [unrolled: 1-line block ×3, first 2 shown]
	v_fma_f64 v[76:77], v[98:99], s[4:5], -v[76:77]
	v_add_f64 v[8:9], v[8:9], v[58:59]
	v_add_f64 v[58:59], v[78:79], v[64:65]
	v_mul_f64 v[64:65], v[88:89], s[30:31]
	v_mul_f64 v[78:79], v[62:63], s[34:35]
	v_fma_f64 v[94:95], v[60:61], s[12:13], v[94:95]
	v_add_f64 v[10:11], v[10:11], v[66:67]
	v_add_f64 v[66:67], v[90:91], v[68:69]
	;; [unrolled: 1-line block ×5, first 2 shown]
	v_add_f64 v[82:83], v[50:51], -v[54:55]
	v_add_f64 v[90:91], v[50:51], v[54:55]
	v_mul_f64 v[54:55], v[62:63], s[2:3]
	v_fma_f64 v[104:105], v[98:99], s[34:35], v[64:65]
	v_fma_f64 v[106:107], v[60:61], s[36:37], v[78:79]
	v_add_f64 v[76:77], v[94:95], v[92:93]
	v_mul_f64 v[50:51], v[88:89], s[14:15]
	v_fma_f64 v[62:63], v[98:99], s[34:35], -v[64:65]
	v_fma_f64 v[64:65], v[60:61], s[30:31], v[78:79]
	v_add_f64 v[78:79], v[48:49], v[52:53]
	v_add_f64 v[88:89], v[48:49], -v[52:53]
	v_mul_f64 v[52:53], v[82:83], s[30:31]
	v_mul_f64 v[92:93], v[90:91], s[34:35]
	v_fma_f64 v[94:95], v[60:61], s[0:1], v[54:55]
	v_fma_f64 v[48:49], v[98:99], s[2:3], v[50:51]
	v_add_f64 v[84:85], v[62:63], v[84:85]
	v_fma_f64 v[50:51], v[98:99], s[2:3], -v[50:51]
	v_fma_f64 v[54:55], v[60:61], s[14:15], v[54:55]
	v_add_f64 v[96:97], v[64:65], v[96:97]
	v_fma_f64 v[60:61], v[78:79], s[34:35], v[52:53]
	v_fma_f64 v[62:63], v[88:89], s[36:37], v[92:93]
	v_add_f64 v[6:7], v[94:95], v[6:7]
	v_mul_f64 v[64:65], v[82:83], s[18:19]
	v_mul_f64 v[94:95], v[90:91], s[4:5]
	v_add_f64 v[2:3], v[48:49], v[2:3]
	v_add_f64 v[98:99], v[50:51], v[56:57]
	;; [unrolled: 1-line block ×5, first 2 shown]
	v_fma_f64 v[14:15], v[78:79], s[34:35], -v[52:53]
	v_mul_f64 v[86:87], v[82:83], s[24:25]
	v_fma_f64 v[54:55], v[88:89], s[30:31], v[92:93]
	v_fma_f64 v[56:57], v[78:79], s[4:5], v[64:65]
	;; [unrolled: 1-line block ×3, first 2 shown]
	v_fma_f64 v[62:63], v[78:79], s[4:5], -v[64:65]
	v_mul_f64 v[92:93], v[90:91], s[26:27]
	v_fma_f64 v[64:65], v[88:89], s[18:19], v[94:95]
	v_add_f64 v[52:53], v[14:15], v[4:5]
	v_fma_f64 v[4:5], v[78:79], s[26:27], v[86:87]
	v_mul_f64 v[14:15], v[82:83], s[14:15]
	v_add_f64 v[56:57], v[56:57], v[8:9]
	v_add_f64 v[58:59], v[60:61], v[58:59]
	;; [unrolled: 1-line block ×3, first 2 shown]
	v_fma_f64 v[8:9], v[88:89], s[28:29], v[92:93]
	v_fma_f64 v[10:11], v[78:79], s[26:27], -v[86:87]
	v_mul_f64 v[86:87], v[90:91], s[2:3]
	v_add_f64 v[54:55], v[54:55], v[12:13]
	v_add_f64 v[62:63], v[64:65], v[66:67]
	v_fma_f64 v[12:13], v[88:89], s[24:25], v[92:93]
	v_add_f64 v[64:65], v[4:5], v[68:69]
	v_mul_f64 v[4:5], v[82:83], s[16:17]
	v_mul_f64 v[82:83], v[90:91], s[20:21]
	v_add_f64 v[74:75], v[104:105], v[74:75]
	v_add_f64 v[80:81], v[106:107], v[80:81]
	;; [unrolled: 1-line block ×4, first 2 shown]
	v_fma_f64 v[8:9], v[78:79], s[2:3], v[14:15]
	v_fma_f64 v[10:11], v[88:89], s[0:1], v[86:87]
	v_add_f64 v[70:71], v[12:13], v[76:77]
	v_fma_f64 v[12:13], v[78:79], s[2:3], -v[14:15]
	v_fma_f64 v[14:15], v[78:79], s[20:21], v[4:5]
	v_fma_f64 v[90:91], v[88:89], s[22:23], v[82:83]
	v_fma_f64 v[4:5], v[78:79], s[20:21], -v[4:5]
	v_fma_f64 v[78:79], v[88:89], s[16:17], v[82:83]
	v_fma_f64 v[88:89], v[88:89], s[14:15], v[86:87]
	v_add_f64 v[72:73], v[8:9], v[74:75]
	v_add_f64 v[74:75], v[10:11], v[80:81]
	;; [unrolled: 1-line block ×8, first 2 shown]
	ds_write_b128 v247, v[44:47]
	ds_write_b128 v247, v[48:51] offset:2640
	ds_write_b128 v247, v[56:59] offset:5280
	;; [unrolled: 1-line block ×10, first 2 shown]
	s_waitcnt lgkmcnt(0)
	s_barrier
	ds_read_b128 v[44:47], v247
	ds_read_b128 v[48:51], v247 offset:2640
	v_mad_u64_u32 v[0:1], s[0:1], s10, v224, 0
	s_mul_i32 s2, s9, 0xa50
	s_waitcnt lgkmcnt(1)
	v_mul_f64 v[2:3], v[34:35], v[46:47]
	v_mul_f64 v[4:5], v[34:35], v[44:45]
	s_mul_hi_u32 s3, s8, 0xa50
	s_add_i32 s2, s3, s2
	s_mul_i32 s3, s8, 0xa50
	v_mov_b32_e32 v10, s2
	v_mad_u64_u32 v[6:7], s[0:1], s11, v224, v[1:2]
	v_mad_u64_u32 v[7:8], s[0:1], s8, v248, 0
	v_fma_f64 v[2:3], v[32:33], v[44:45], v[2:3]
	v_fma_f64 v[4:5], v[32:33], v[46:47], -v[4:5]
	v_mov_b32_e32 v1, v6
	v_mov_b32_e32 v6, v8
	v_mad_u64_u32 v[8:9], s[0:1], s9, v248, v[6:7]
	s_mov_b32 s0, 0x953a4099
	s_mov_b32 s1, 0x3f420dd2
	v_mul_f64 v[32:33], v[2:3], s[0:1]
	v_mul_f64 v[34:35], v[4:5], s[0:1]
	v_lshlrev_b64 v[0:1], 4, v[0:1]
	s_waitcnt lgkmcnt(0)
	v_mul_f64 v[2:3], v[22:23], v[50:51]
	v_mul_f64 v[4:5], v[22:23], v[48:49]
	v_mov_b32_e32 v6, s7
	v_add_co_u32_e32 v9, vcc, s6, v0
	v_addc_co_u32_e32 v6, vcc, v6, v1, vcc
	v_lshlrev_b64 v[0:1], 4, v[7:8]
	v_fma_f64 v[2:3], v[20:21], v[48:49], v[2:3]
	v_add_co_u32_e32 v0, vcc, v9, v0
	v_addc_co_u32_e32 v1, vcc, v6, v1, vcc
	global_store_dwordx4 v[0:1], v[32:35], off
	v_fma_f64 v[4:5], v[20:21], v[50:51], -v[4:5]
	ds_read_b128 v[20:23], v247 offset:5280
	ds_read_b128 v[44:47], v247 offset:7920
	buffer_load_dword v11, off, s[40:43], 0 offset:16 ; 4-byte Folded Reload
	buffer_load_dword v12, off, s[40:43], 0 offset:20 ; 4-byte Folded Reload
	buffer_load_dword v13, off, s[40:43], 0 offset:24 ; 4-byte Folded Reload
	buffer_load_dword v14, off, s[40:43], 0 offset:28 ; 4-byte Folded Reload
	v_mul_f64 v[32:33], v[2:3], s[0:1]
	v_add_co_u32_e32 v0, vcc, s3, v0
	s_waitcnt lgkmcnt(1)
	v_mul_f64 v[2:3], v[26:27], v[22:23]
	v_mul_f64 v[6:7], v[26:27], v[20:21]
	;; [unrolled: 1-line block ×3, first 2 shown]
	v_addc_co_u32_e32 v1, vcc, v1, v10, vcc
	v_fma_f64 v[2:3], v[24:25], v[20:21], v[2:3]
	v_fma_f64 v[4:5], v[24:25], v[22:23], -v[6:7]
	global_store_dwordx4 v[0:1], v[32:35], off
	ds_read_b128 v[24:27], v247 offset:10560
	v_add_co_u32_e32 v0, vcc, s3, v0
	v_mul_f64 v[20:21], v[2:3], s[0:1]
	v_mul_f64 v[22:23], v[4:5], s[0:1]
	s_waitcnt vmcnt(1) lgkmcnt(1)
	v_mul_f64 v[6:7], v[13:14], v[46:47]
	v_mul_f64 v[8:9], v[13:14], v[44:45]
	v_mov_b32_e32 v14, s2
	v_addc_co_u32_e32 v1, vcc, v1, v14, vcc
	v_fma_f64 v[2:3], v[11:12], v[44:45], v[6:7]
	ds_read_b128 v[4:7], v247 offset:13200
	buffer_load_dword v32, off, s[40:43], 0 offset:32 ; 4-byte Folded Reload
	buffer_load_dword v33, off, s[40:43], 0 offset:36 ; 4-byte Folded Reload
	;; [unrolled: 1-line block ×4, first 2 shown]
	v_fma_f64 v[8:9], v[11:12], v[46:47], -v[8:9]
	global_store_dwordx4 v[0:1], v[20:23], off
	v_add_co_u32_e32 v0, vcc, s3, v0
	s_waitcnt lgkmcnt(0)
	v_mul_f64 v[14:15], v[38:39], v[4:5]
	v_mul_f64 v[20:21], v[2:3], s[0:1]
	;; [unrolled: 1-line block ×3, first 2 shown]
	v_mov_b32_e32 v8, s2
	v_addc_co_u32_e32 v1, vcc, v1, v8, vcc
	global_store_dwordx4 v[0:1], v[20:23], off
	ds_read_b128 v[20:23], v247 offset:15840
	v_add_co_u32_e32 v0, vcc, s3, v0
	s_waitcnt vmcnt(2)
	v_mul_f64 v[10:11], v[34:35], v[26:27]
	v_mul_f64 v[12:13], v[34:35], v[24:25]
	v_fma_f64 v[2:3], v[32:33], v[24:25], v[10:11]
	v_fma_f64 v[10:11], v[32:33], v[26:27], -v[12:13]
	v_mul_f64 v[12:13], v[38:39], v[6:7]
	v_mov_b32_e32 v26, s2
	v_addc_co_u32_e32 v1, vcc, v1, v26, vcc
	v_mul_f64 v[8:9], v[2:3], s[0:1]
	v_mul_f64 v[10:11], v[10:11], s[0:1]
	v_fma_f64 v[2:3], v[36:37], v[4:5], v[12:13]
	v_fma_f64 v[12:13], v[36:37], v[6:7], -v[14:15]
	ds_read_b128 v[4:7], v247 offset:18480
	buffer_load_dword v32, off, s[40:43], 0 offset:48 ; 4-byte Folded Reload
	buffer_load_dword v33, off, s[40:43], 0 offset:52 ; 4-byte Folded Reload
	;; [unrolled: 1-line block ×4, first 2 shown]
	s_waitcnt vmcnt(0) lgkmcnt(1)
	v_mul_f64 v[24:25], v[34:35], v[20:21]
	v_mul_f64 v[14:15], v[34:35], v[22:23]
	global_store_dwordx4 v[0:1], v[8:11], off
	v_add_co_u32_e32 v0, vcc, s3, v0
	v_mul_f64 v[8:9], v[2:3], s[0:1]
	v_mul_f64 v[10:11], v[12:13], s[0:1]
	v_addc_co_u32_e32 v1, vcc, v1, v26, vcc
	v_fma_f64 v[12:13], v[32:33], v[22:23], -v[24:25]
	v_fma_f64 v[2:3], v[32:33], v[20:21], v[14:15]
	s_waitcnt lgkmcnt(0)
	v_mul_f64 v[20:21], v[18:19], v[6:7]
	v_mul_f64 v[18:19], v[18:19], v[4:5]
	v_mov_b32_e32 v22, s2
	global_store_dwordx4 v[0:1], v[8:11], off
	v_add_co_u32_e32 v0, vcc, s3, v0
	v_mul_f64 v[10:11], v[12:13], s[0:1]
	ds_read_b128 v[12:15], v247 offset:21120
	v_mul_f64 v[8:9], v[2:3], s[0:1]
	v_fma_f64 v[2:3], v[16:17], v[4:5], v[20:21]
	v_fma_f64 v[16:17], v[16:17], v[6:7], -v[18:19]
	ds_read_b128 v[4:7], v247 offset:23760
	s_waitcnt lgkmcnt(1)
	v_mul_f64 v[18:19], v[42:43], v[14:15]
	v_mul_f64 v[20:21], v[42:43], v[12:13]
	v_addc_co_u32_e32 v1, vcc, v1, v22, vcc
	global_store_dwordx4 v[0:1], v[8:11], off
	v_add_co_u32_e32 v0, vcc, s3, v0
	v_mul_f64 v[8:9], v[2:3], s[0:1]
	v_mul_f64 v[10:11], v[16:17], s[0:1]
	v_fma_f64 v[2:3], v[40:41], v[12:13], v[18:19]
	v_fma_f64 v[16:17], v[40:41], v[14:15], -v[20:21]
	ds_read_b128 v[12:15], v247 offset:26400
	buffer_load_dword v32, off, s[40:43], 0 ; 4-byte Folded Reload
	buffer_load_dword v33, off, s[40:43], 0 offset:4 ; 4-byte Folded Reload
	buffer_load_dword v34, off, s[40:43], 0 offset:8 ; 4-byte Folded Reload
	;; [unrolled: 1-line block ×3, first 2 shown]
	v_addc_co_u32_e32 v1, vcc, v1, v22, vcc
	s_waitcnt lgkmcnt(0)
	v_mul_f64 v[22:23], v[30:31], v[14:15]
	v_mul_f64 v[24:25], v[30:31], v[12:13]
	global_store_dwordx4 v[0:1], v[8:11], off
	s_waitcnt vmcnt(1)
	v_mul_f64 v[18:19], v[34:35], v[6:7]
	v_mul_f64 v[20:21], v[34:35], v[4:5]
	;; [unrolled: 1-line block ×4, first 2 shown]
	v_mov_b32_e32 v16, s2
	v_fma_f64 v[2:3], v[32:33], v[4:5], v[18:19]
	v_fma_f64 v[4:5], v[32:33], v[6:7], -v[20:21]
	v_fma_f64 v[6:7], v[28:29], v[12:13], v[22:23]
	v_fma_f64 v[12:13], v[28:29], v[14:15], -v[24:25]
	v_add_co_u32_e32 v14, vcc, s3, v0
	v_addc_co_u32_e32 v15, vcc, v1, v16, vcc
	v_mul_f64 v[0:1], v[2:3], s[0:1]
	v_mul_f64 v[2:3], v[4:5], s[0:1]
	;; [unrolled: 1-line block ×4, first 2 shown]
	global_store_dwordx4 v[14:15], v[8:11], off
	s_nop 0
	v_mov_b32_e32 v9, s2
	v_add_co_u32_e32 v8, vcc, s3, v14
	v_addc_co_u32_e32 v9, vcc, v15, v9, vcc
	global_store_dwordx4 v[8:9], v[0:3], off
	s_nop 0
	v_mov_b32_e32 v1, s2
	v_add_co_u32_e32 v0, vcc, s3, v8
	v_addc_co_u32_e32 v1, vcc, v9, v1, vcc
	global_store_dwordx4 v[0:1], v[4:7], off
.LBB0_18:
	s_endpgm
	.section	.rodata,"a",@progbits
	.p2align	6, 0x0
	.amdhsa_kernel bluestein_single_fwd_len1815_dim1_dp_op_CI_CI
		.amdhsa_group_segment_fixed_size 29040
		.amdhsa_private_segment_fixed_size 92
		.amdhsa_kernarg_size 104
		.amdhsa_user_sgpr_count 6
		.amdhsa_user_sgpr_private_segment_buffer 1
		.amdhsa_user_sgpr_dispatch_ptr 0
		.amdhsa_user_sgpr_queue_ptr 0
		.amdhsa_user_sgpr_kernarg_segment_ptr 1
		.amdhsa_user_sgpr_dispatch_id 0
		.amdhsa_user_sgpr_flat_scratch_init 0
		.amdhsa_user_sgpr_private_segment_size 0
		.amdhsa_uses_dynamic_stack 0
		.amdhsa_system_sgpr_private_segment_wavefront_offset 1
		.amdhsa_system_sgpr_workgroup_id_x 1
		.amdhsa_system_sgpr_workgroup_id_y 0
		.amdhsa_system_sgpr_workgroup_id_z 0
		.amdhsa_system_sgpr_workgroup_info 0
		.amdhsa_system_vgpr_workitem_id 0
		.amdhsa_next_free_vgpr 256
		.amdhsa_next_free_sgpr 44
		.amdhsa_reserve_vcc 1
		.amdhsa_reserve_flat_scratch 0
		.amdhsa_float_round_mode_32 0
		.amdhsa_float_round_mode_16_64 0
		.amdhsa_float_denorm_mode_32 3
		.amdhsa_float_denorm_mode_16_64 3
		.amdhsa_dx10_clamp 1
		.amdhsa_ieee_mode 1
		.amdhsa_fp16_overflow 0
		.amdhsa_exception_fp_ieee_invalid_op 0
		.amdhsa_exception_fp_denorm_src 0
		.amdhsa_exception_fp_ieee_div_zero 0
		.amdhsa_exception_fp_ieee_overflow 0
		.amdhsa_exception_fp_ieee_underflow 0
		.amdhsa_exception_fp_ieee_inexact 0
		.amdhsa_exception_int_div_zero 0
	.end_amdhsa_kernel
	.text
.Lfunc_end0:
	.size	bluestein_single_fwd_len1815_dim1_dp_op_CI_CI, .Lfunc_end0-bluestein_single_fwd_len1815_dim1_dp_op_CI_CI
                                        ; -- End function
	.section	.AMDGPU.csdata,"",@progbits
; Kernel info:
; codeLenInByte = 21576
; NumSgprs: 48
; NumVgprs: 256
; ScratchSize: 92
; MemoryBound: 0
; FloatMode: 240
; IeeeMode: 1
; LDSByteSize: 29040 bytes/workgroup (compile time only)
; SGPRBlocks: 5
; VGPRBlocks: 63
; NumSGPRsForWavesPerEU: 48
; NumVGPRsForWavesPerEU: 256
; Occupancy: 1
; WaveLimiterHint : 1
; COMPUTE_PGM_RSRC2:SCRATCH_EN: 1
; COMPUTE_PGM_RSRC2:USER_SGPR: 6
; COMPUTE_PGM_RSRC2:TRAP_HANDLER: 0
; COMPUTE_PGM_RSRC2:TGID_X_EN: 1
; COMPUTE_PGM_RSRC2:TGID_Y_EN: 0
; COMPUTE_PGM_RSRC2:TGID_Z_EN: 0
; COMPUTE_PGM_RSRC2:TIDIG_COMP_CNT: 0
	.type	__hip_cuid_ffaa7e1f0254500f,@object ; @__hip_cuid_ffaa7e1f0254500f
	.section	.bss,"aw",@nobits
	.globl	__hip_cuid_ffaa7e1f0254500f
__hip_cuid_ffaa7e1f0254500f:
	.byte	0                               ; 0x0
	.size	__hip_cuid_ffaa7e1f0254500f, 1

	.ident	"AMD clang version 19.0.0git (https://github.com/RadeonOpenCompute/llvm-project roc-6.4.0 25133 c7fe45cf4b819c5991fe208aaa96edf142730f1d)"
	.section	".note.GNU-stack","",@progbits
	.addrsig
	.addrsig_sym __hip_cuid_ffaa7e1f0254500f
	.amdgpu_metadata
---
amdhsa.kernels:
  - .args:
      - .actual_access:  read_only
        .address_space:  global
        .offset:         0
        .size:           8
        .value_kind:     global_buffer
      - .actual_access:  read_only
        .address_space:  global
        .offset:         8
        .size:           8
        .value_kind:     global_buffer
      - .actual_access:  read_only
        .address_space:  global
        .offset:         16
        .size:           8
        .value_kind:     global_buffer
      - .actual_access:  read_only
        .address_space:  global
        .offset:         24
        .size:           8
        .value_kind:     global_buffer
      - .actual_access:  read_only
        .address_space:  global
        .offset:         32
        .size:           8
        .value_kind:     global_buffer
      - .offset:         40
        .size:           8
        .value_kind:     by_value
      - .address_space:  global
        .offset:         48
        .size:           8
        .value_kind:     global_buffer
      - .address_space:  global
        .offset:         56
        .size:           8
        .value_kind:     global_buffer
      - .address_space:  global
        .offset:         64
        .size:           8
        .value_kind:     global_buffer
      - .address_space:  global
        .offset:         72
        .size:           8
        .value_kind:     global_buffer
      - .offset:         80
        .size:           4
        .value_kind:     by_value
      - .address_space:  global
        .offset:         88
        .size:           8
        .value_kind:     global_buffer
      - .address_space:  global
        .offset:         96
        .size:           8
        .value_kind:     global_buffer
    .group_segment_fixed_size: 29040
    .kernarg_segment_align: 8
    .kernarg_segment_size: 104
    .language:       OpenCL C
    .language_version:
      - 2
      - 0
    .max_flat_workgroup_size: 165
    .name:           bluestein_single_fwd_len1815_dim1_dp_op_CI_CI
    .private_segment_fixed_size: 92
    .sgpr_count:     48
    .sgpr_spill_count: 0
    .symbol:         bluestein_single_fwd_len1815_dim1_dp_op_CI_CI.kd
    .uniform_work_group_size: 1
    .uses_dynamic_stack: false
    .vgpr_count:     256
    .vgpr_spill_count: 22
    .wavefront_size: 64
amdhsa.target:   amdgcn-amd-amdhsa--gfx906
amdhsa.version:
  - 1
  - 2
...

	.end_amdgpu_metadata
